;; amdgpu-corpus repo=ROCm/rocBLAS kind=compiled arch=gfx1250 opt=O3
	.amdgcn_target "amdgcn-amd-amdhsa--gfx1250"
	.amdhsa_code_object_version 6
	.section	.text._ZL18rocblas_hpr_kernelILi64ELi16ELi2EPKfPK19rocblas_complex_numIfEPS3_EvbiT2_T3_lllT4_lli,"axG",@progbits,_ZL18rocblas_hpr_kernelILi64ELi16ELi2EPKfPK19rocblas_complex_numIfEPS3_EvbiT2_T3_lllT4_lli,comdat
	.globl	_ZL18rocblas_hpr_kernelILi64ELi16ELi2EPKfPK19rocblas_complex_numIfEPS3_EvbiT2_T3_lllT4_lli ; -- Begin function _ZL18rocblas_hpr_kernelILi64ELi16ELi2EPKfPK19rocblas_complex_numIfEPS3_EvbiT2_T3_lllT4_lli
	.p2align	8
	.type	_ZL18rocblas_hpr_kernelILi64ELi16ELi2EPKfPK19rocblas_complex_numIfEPS3_EvbiT2_T3_lllT4_lli,@function
_ZL18rocblas_hpr_kernelILi64ELi16ELi2EPKfPK19rocblas_complex_numIfEPS3_EvbiT2_T3_lllT4_lli: ; @_ZL18rocblas_hpr_kernelILi64ELi16ELi2EPKfPK19rocblas_complex_numIfEPS3_EvbiT2_T3_lllT4_lli
; %bb.0:
	s_load_b512 s[4:19], s[0:1], 0x8
	s_wait_kmcnt 0x0
	s_load_b32 s24, s[4:5], 0x0
	s_wait_kmcnt 0x0
	s_cmp_eq_f32 s24, 0
	s_cbranch_scc1 .LBB0_24
; %bb.1:
	s_load_b32 s25, s[0:1], 0x48
	s_bfe_u32 s2, ttmp6, 0x40014
	s_lshr_b32 s3, ttmp7, 16
	s_add_co_i32 s2, s2, 1
	s_bfe_u32 s5, ttmp6, 0x40008
	s_mul_i32 s4, s3, s2
	s_getreg_b32 s2, hwreg(HW_REG_IB_STS2, 6, 4)
	s_add_co_i32 s5, s5, s4
	s_cmp_eq_u32 s2, 0
	s_cselect_b32 s20, s3, s5
	s_wait_kmcnt 0x0
	s_cmp_ge_u32 s20, s25
	s_cbranch_scc1 .LBB0_24
; %bb.2:
	s_load_b64 s[22:23], s[0:1], 0x0
	s_wait_xcnt 0x0
	s_lshl_b64 s[0:1], s[8:9], 3
	s_lshl_b64 s[4:5], s[16:17], 3
	v_bfe_u32 v1, v0, 10, 10
	v_and_b32_e32 v0, 0x3ff, v0
	s_add_nc_u64 s[14:15], s[14:15], s[4:5]
	s_wait_kmcnt 0x0
	s_bitcmp1_b32 s22, 0
	s_cselect_b32 vcc_lo, -1, 0
	s_bfe_u32 s8, ttmp6, 0x40010
	s_bfe_u32 s21, ttmp6, 0x4000c
	s_and_b32 s3, ttmp7, 0xffff
	s_add_co_i32 s8, s8, 1
	s_add_co_i32 s21, s21, 1
	s_bfe_u32 s9, ttmp6, 0x40004
	s_and_b32 s17, ttmp6, 15
	s_mul_i32 s8, s3, s8
	s_mul_i32 s21, ttmp9, s21
	s_xor_b32 s16, vcc_lo, -1
	s_add_co_i32 s9, s9, s8
	s_add_co_i32 s17, s17, s21
	s_cmp_eq_u32 s2, 0
	s_mov_b32 s21, 0
	s_cselect_b32 s2, s3, s9
	s_add_nc_u64 s[8:9], s[6:7], s[0:1]
	v_lshl_add_u32 v10, s2, 4, v1
	s_cselect_b32 s2, ttmp9, s17
	s_lshl_b32 s3, s23, 1
	v_lshl_add_u32 v8, s2, 7, v0
	s_delay_alu instid0(VALU_DEP_2) | instskip(SKIP_2) | instid1(VALU_DEP_4)
	v_dual_mov_b32 v1, 0 :: v_dual_ashrrev_i32 v11, 31, v10
	v_sub_nc_u32_e32 v0, s3, v10
	v_mad_u32 v14, v10, v10, v10
	v_dual_add_nc_u32 v12, 64, v8 :: v_dual_ashrrev_i32 v9, 31, v8
	s_delay_alu instid0(VALU_DEP_4) | instskip(NEXT) | instid1(VALU_DEP_4)
	v_mul_u64_e32 v[2:3], s[10:11], v[10:11]
	v_mad_u32 v0, v10, v0, v10
	v_cmp_gt_i32_e64 s2, s23, v8
	s_delay_alu instid0(VALU_DEP_4)
	v_ashrrev_i32_e32 v13, 31, v12
	v_cmp_le_i32_e64 s3, s23, v8
	v_cmp_le_i32_e64 s4, v8, v10
	v_cmp_lt_i32_e64 s5, v8, v10
	v_cmp_eq_u32_e64 s6, v8, v10
	v_mul_u64_e32 v[6:7], s[10:11], v[12:13]
	v_sub_nc_u32_e32 v13, v8, v10
	v_mul_u64_e32 v[4:5], s[10:11], v[8:9]
	v_dual_lshrrev_b32 v9, 31, v14 :: v_dual_lshrrev_b32 v11, 31, v0
	v_cmp_gt_i32_e64 s1, s23, v10
	s_and_b32 s6, s6, s2
	v_cmp_lt_i32_e64 s2, v10, v12
	v_dual_add_nc_u32 v9, v14, v9 :: v_dual_add_nc_u32 v0, v0, v11
	s_and_b32 s5, s5, s1
	v_cmp_gt_i32_e64 s1, s23, v12
	v_cmp_le_i32_e64 s0, s23, v10
	s_delay_alu instid0(VALU_DEP_3)
	v_dual_ashrrev_i32 v9, 1, v9 :: v_dual_ashrrev_i32 v0, 1, v0
	s_or_b32 s4, s4, s3
	v_cmp_eq_u32_e64 s3, v12, v10
	s_and_b32 s10, s1, s2
	v_add_nc_u32_e32 v8, v9, v8
	v_add_nc_u32_e32 v0, v13, v0
	s_xor_b32 s7, s5, -1
	s_xor_b32 s11, s10, -1
	s_and_b32 s22, s3, s1
	s_delay_alu instid0(VALU_DEP_1) | instskip(SKIP_1) | instid1(VALU_DEP_2)
	v_cndmask_b32_e32 v8, v0, v8, vcc_lo
	v_cmp_ge_i32_e32 vcc_lo, v12, v10
	v_ashrrev_i32_e32 v9, 31, v8
	s_or_b32 s17, s0, vcc_lo
	s_branch .LBB0_4
.LBB0_3:                                ;   in Loop: Header=BB0_4 Depth=1
	s_wait_xcnt 0x0
	s_or_b32 exec_lo, exec_lo, s26
	s_add_co_i32 s20, s20, 0x10000
	s_delay_alu instid0(SALU_CYCLE_1)
	s_cmp_lt_u32 s20, s25
	s_cbranch_scc0 .LBB0_24
.LBB0_4:                                ; =>This Inner Loop Header: Depth=1
	s_and_b32 vcc_lo, exec_lo, s16
	s_mov_b32 s26, 0
	s_mov_b32 s23, 0
	s_mov_b32 s0, -1
	s_cbranch_vccz .LBB0_6
; %bb.5:                                ;   in Loop: Header=BB0_4 Depth=1
	s_mov_b32 s0, 0
	s_mov_b32 s23, -1
	s_and_b32 s26, s4, exec_lo
.LBB0_6:                                ;   in Loop: Header=BB0_4 Depth=1
	s_and_not1_b32 vcc_lo, exec_lo, s0
	s_cbranch_vccnz .LBB0_8
; %bb.7:                                ;   in Loop: Header=BB0_4 Depth=1
	s_and_not1_b32 s0, s23, exec_lo
	s_and_b32 s1, s5, exec_lo
	s_and_not1_b32 s2, s26, exec_lo
	s_and_b32 s3, s7, exec_lo
	s_or_b32 s23, s0, s1
	s_or_b32 s26, s2, s3
.LBB0_8:                                ;   in Loop: Header=BB0_4 Depth=1
	s_mul_u64 s[0:1], s[12:13], s[20:21]
	s_mul_u64 s[2:3], s[18:19], s[20:21]
	s_lshl_b64 s[0:1], s[0:1], 3
	s_lshl_b64 s[28:29], s[2:3], 3
	s_add_nc_u64 s[2:3], s[8:9], s[0:1]
	s_add_nc_u64 s[0:1], s[14:15], s[28:29]
	s_and_saveexec_b32 s27, s26
	s_delay_alu instid0(SALU_CYCLE_1)
	s_xor_b32 s26, exec_lo, s27
	s_cbranch_execnz .LBB0_15
; %bb.9:                                ;   in Loop: Header=BB0_4 Depth=1
	s_or_b32 exec_lo, exec_lo, s26
	v_lshl_add_u64 v[10:11], v[2:3], 3, s[2:3]
	s_and_saveexec_b32 s26, s23
	s_cbranch_execnz .LBB0_18
.LBB0_10:                               ;   in Loop: Header=BB0_4 Depth=1
	s_or_b32 exec_lo, exec_lo, s26
	s_delay_alu instid0(SALU_CYCLE_1)
	s_and_not1_b32 vcc_lo, exec_lo, s16
	s_cbranch_vccnz .LBB0_19
.LBB0_11:                               ;   in Loop: Header=BB0_4 Depth=1
	s_and_b32 s23, s10, exec_lo
	s_and_b32 s27, s11, exec_lo
	s_cbranch_execnz .LBB0_13
.LBB0_12:                               ;   in Loop: Header=BB0_4 Depth=1
	s_and_not1_b32 s26, s27, exec_lo
	s_and_b32 s27, s17, exec_lo
	s_or_b32 s23, s23, exec_lo
	s_or_b32 s27, s26, s27
.LBB0_13:                               ;   in Loop: Header=BB0_4 Depth=1
	s_delay_alu instid0(SALU_CYCLE_1)
	s_and_saveexec_b32 s26, s27
	s_cbranch_execnz .LBB0_20
; %bb.14:                               ;   in Loop: Header=BB0_4 Depth=1
	s_or_b32 exec_lo, exec_lo, s26
	s_and_saveexec_b32 s26, s23
	s_cbranch_execz .LBB0_3
	s_branch .LBB0_23
.LBB0_15:                               ;   in Loop: Header=BB0_4 Depth=1
	s_and_saveexec_b32 s27, s6
	s_cbranch_execz .LBB0_17
; %bb.16:                               ;   in Loop: Header=BB0_4 Depth=1
	v_lshl_add_u64 v[10:11], v[4:5], 3, s[2:3]
	v_lshl_add_u64 v[12:13], v[8:9], 3, s[0:1]
	global_load_b64 v[10:11], v[10:11], off
	global_load_b32 v0, v[12:13], off
	s_wait_loadcnt 0x1
	s_wait_xcnt 0x1
	v_mul_f32_e32 v11, v11, v11
	s_delay_alu instid0(VALU_DEP_1) | instskip(SKIP_1) | instid1(VALU_DEP_1)
	v_fmac_f32_e32 v11, v10, v10
	s_wait_loadcnt 0x0
	v_fmac_f32_e32 v0, s24, v11
	global_store_b64 v[12:13], v[0:1], off
.LBB0_17:                               ;   in Loop: Header=BB0_4 Depth=1
	s_wait_xcnt 0x0
	s_or_b32 exec_lo, exec_lo, s27
	s_delay_alu instid0(SALU_CYCLE_1)
	s_and_not1_b32 s23, s23, exec_lo
	s_or_b32 exec_lo, exec_lo, s26
	v_lshl_add_u64 v[10:11], v[2:3], 3, s[2:3]
	s_and_saveexec_b32 s26, s23
	s_cbranch_execz .LBB0_10
.LBB0_18:                               ;   in Loop: Header=BB0_4 Depth=1
	v_lshl_add_u64 v[12:13], v[4:5], 3, s[2:3]
	s_clause 0x1
	global_load_b64 v[14:15], v[12:13], off
	global_load_b64 v[16:17], v[10:11], off
	s_wait_xcnt 0x1
	v_lshl_add_u64 v[12:13], v[8:9], 3, s[0:1]
	global_load_b64 v[18:19], v[12:13], off
	s_wait_loadcnt 0x2
	v_dual_mul_f32 v0, s24, v14 :: v_dual_mul_f32 v14, s24, v15
	s_wait_loadcnt 0x1
	s_delay_alu instid0(VALU_DEP_1) | instskip(NEXT) | instid1(VALU_DEP_1)
	v_pk_mul_f32 v[20:21], v[0:1], v[16:17] op_sel_hi:[0,1]
	v_pk_fma_f32 v[22:23], v[14:15], v[16:17], v[20:21] op_sel:[0,1,0] op_sel_hi:[0,0,1] neg_lo:[0,0,1] neg_hi:[0,0,1]
	v_pk_fma_f32 v[14:15], v[14:15], v[16:17], v[20:21] op_sel:[0,1,0] op_sel_hi:[1,0,1]
	s_delay_alu instid0(VALU_DEP_2) | instskip(SKIP_1) | instid1(VALU_DEP_1)
	v_mov_b32_e32 v15, v23
	s_wait_loadcnt 0x0
	v_pk_add_f32 v[14:15], v[18:19], v[14:15]
	global_store_b64 v[12:13], v[14:15], off
	s_wait_xcnt 0x0
	s_or_b32 exec_lo, exec_lo, s26
	s_delay_alu instid0(SALU_CYCLE_1)
	s_and_not1_b32 vcc_lo, exec_lo, s16
	s_cbranch_vccz .LBB0_11
.LBB0_19:                               ;   in Loop: Header=BB0_4 Depth=1
	s_mov_b32 s27, 0
	s_mov_b32 s23, 0
	s_branch .LBB0_12
.LBB0_20:                               ;   in Loop: Header=BB0_4 Depth=1
	s_and_saveexec_b32 s27, s22
	s_cbranch_execz .LBB0_22
; %bb.21:                               ;   in Loop: Header=BB0_4 Depth=1
	global_load_b64 v[12:13], v[10:11], off
	v_lshl_add_u64 v[14:15], v[8:9], 3, s[0:1]
	global_load_b32 v0, v[14:15], off offset:512
	s_wait_loadcnt 0x1
	v_mul_f32_e32 v13, v13, v13
	s_delay_alu instid0(VALU_DEP_1) | instskip(SKIP_1) | instid1(VALU_DEP_1)
	v_fmac_f32_e32 v13, v12, v12
	s_wait_loadcnt 0x0
	v_fmac_f32_e32 v0, s24, v13
	global_store_b64 v[14:15], v[0:1], off offset:512
.LBB0_22:                               ;   in Loop: Header=BB0_4 Depth=1
	s_wait_xcnt 0x0
	s_or_b32 exec_lo, exec_lo, s27
	s_delay_alu instid0(SALU_CYCLE_1)
	s_and_not1_b32 s23, s23, exec_lo
	s_or_b32 exec_lo, exec_lo, s26
	s_and_saveexec_b32 s26, s23
	s_cbranch_execz .LBB0_3
.LBB0_23:                               ;   in Loop: Header=BB0_4 Depth=1
	v_lshl_add_u64 v[12:13], v[6:7], 3, s[2:3]
	s_clause 0x1
	global_load_b64 v[14:15], v[12:13], off
	global_load_b64 v[16:17], v[10:11], off
	s_wait_xcnt 0x0
	v_lshl_add_u64 v[10:11], v[8:9], 3, s[0:1]
	global_load_b64 v[12:13], v[10:11], off offset:512
	s_wait_loadcnt 0x2
	v_dual_mul_f32 v0, s24, v14 :: v_dual_mul_f32 v14, s24, v15
	s_wait_loadcnt 0x1
	s_delay_alu instid0(VALU_DEP_1) | instskip(NEXT) | instid1(VALU_DEP_1)
	v_pk_mul_f32 v[18:19], v[0:1], v[16:17] op_sel_hi:[0,1]
	v_pk_fma_f32 v[20:21], v[14:15], v[16:17], v[18:19] op_sel:[0,1,0] op_sel_hi:[0,0,1] neg_lo:[0,0,1] neg_hi:[0,0,1]
	v_pk_fma_f32 v[14:15], v[14:15], v[16:17], v[18:19] op_sel:[0,1,0] op_sel_hi:[1,0,1]
	s_delay_alu instid0(VALU_DEP_2) | instskip(SKIP_1) | instid1(VALU_DEP_1)
	v_mov_b32_e32 v15, v21
	s_wait_loadcnt 0x0
	v_pk_add_f32 v[12:13], v[12:13], v[14:15]
	global_store_b64 v[10:11], v[12:13], off offset:512
	s_branch .LBB0_3
.LBB0_24:
	s_endpgm
	.section	.rodata,"a",@progbits
	.p2align	6, 0x0
	.amdhsa_kernel _ZL18rocblas_hpr_kernelILi64ELi16ELi2EPKfPK19rocblas_complex_numIfEPS3_EvbiT2_T3_lllT4_lli
		.amdhsa_group_segment_fixed_size 0
		.amdhsa_private_segment_fixed_size 0
		.amdhsa_kernarg_size 76
		.amdhsa_user_sgpr_count 2
		.amdhsa_user_sgpr_dispatch_ptr 0
		.amdhsa_user_sgpr_queue_ptr 0
		.amdhsa_user_sgpr_kernarg_segment_ptr 1
		.amdhsa_user_sgpr_dispatch_id 0
		.amdhsa_user_sgpr_kernarg_preload_length 0
		.amdhsa_user_sgpr_kernarg_preload_offset 0
		.amdhsa_user_sgpr_private_segment_size 0
		.amdhsa_wavefront_size32 1
		.amdhsa_uses_dynamic_stack 0
		.amdhsa_enable_private_segment 0
		.amdhsa_system_sgpr_workgroup_id_x 1
		.amdhsa_system_sgpr_workgroup_id_y 1
		.amdhsa_system_sgpr_workgroup_id_z 1
		.amdhsa_system_sgpr_workgroup_info 0
		.amdhsa_system_vgpr_workitem_id 1
		.amdhsa_next_free_vgpr 24
		.amdhsa_next_free_sgpr 30
		.amdhsa_named_barrier_count 0
		.amdhsa_reserve_vcc 1
		.amdhsa_float_round_mode_32 0
		.amdhsa_float_round_mode_16_64 0
		.amdhsa_float_denorm_mode_32 3
		.amdhsa_float_denorm_mode_16_64 3
		.amdhsa_fp16_overflow 0
		.amdhsa_memory_ordered 1
		.amdhsa_forward_progress 1
		.amdhsa_inst_pref_size 10
		.amdhsa_round_robin_scheduling 0
		.amdhsa_exception_fp_ieee_invalid_op 0
		.amdhsa_exception_fp_denorm_src 0
		.amdhsa_exception_fp_ieee_div_zero 0
		.amdhsa_exception_fp_ieee_overflow 0
		.amdhsa_exception_fp_ieee_underflow 0
		.amdhsa_exception_fp_ieee_inexact 0
		.amdhsa_exception_int_div_zero 0
	.end_amdhsa_kernel
	.section	.text._ZL18rocblas_hpr_kernelILi64ELi16ELi2EPKfPK19rocblas_complex_numIfEPS3_EvbiT2_T3_lllT4_lli,"axG",@progbits,_ZL18rocblas_hpr_kernelILi64ELi16ELi2EPKfPK19rocblas_complex_numIfEPS3_EvbiT2_T3_lllT4_lli,comdat
.Lfunc_end0:
	.size	_ZL18rocblas_hpr_kernelILi64ELi16ELi2EPKfPK19rocblas_complex_numIfEPS3_EvbiT2_T3_lllT4_lli, .Lfunc_end0-_ZL18rocblas_hpr_kernelILi64ELi16ELi2EPKfPK19rocblas_complex_numIfEPS3_EvbiT2_T3_lllT4_lli
                                        ; -- End function
	.set _ZL18rocblas_hpr_kernelILi64ELi16ELi2EPKfPK19rocblas_complex_numIfEPS3_EvbiT2_T3_lllT4_lli.num_vgpr, 24
	.set _ZL18rocblas_hpr_kernelILi64ELi16ELi2EPKfPK19rocblas_complex_numIfEPS3_EvbiT2_T3_lllT4_lli.num_agpr, 0
	.set _ZL18rocblas_hpr_kernelILi64ELi16ELi2EPKfPK19rocblas_complex_numIfEPS3_EvbiT2_T3_lllT4_lli.numbered_sgpr, 30
	.set _ZL18rocblas_hpr_kernelILi64ELi16ELi2EPKfPK19rocblas_complex_numIfEPS3_EvbiT2_T3_lllT4_lli.num_named_barrier, 0
	.set _ZL18rocblas_hpr_kernelILi64ELi16ELi2EPKfPK19rocblas_complex_numIfEPS3_EvbiT2_T3_lllT4_lli.private_seg_size, 0
	.set _ZL18rocblas_hpr_kernelILi64ELi16ELi2EPKfPK19rocblas_complex_numIfEPS3_EvbiT2_T3_lllT4_lli.uses_vcc, 1
	.set _ZL18rocblas_hpr_kernelILi64ELi16ELi2EPKfPK19rocblas_complex_numIfEPS3_EvbiT2_T3_lllT4_lli.uses_flat_scratch, 0
	.set _ZL18rocblas_hpr_kernelILi64ELi16ELi2EPKfPK19rocblas_complex_numIfEPS3_EvbiT2_T3_lllT4_lli.has_dyn_sized_stack, 0
	.set _ZL18rocblas_hpr_kernelILi64ELi16ELi2EPKfPK19rocblas_complex_numIfEPS3_EvbiT2_T3_lllT4_lli.has_recursion, 0
	.set _ZL18rocblas_hpr_kernelILi64ELi16ELi2EPKfPK19rocblas_complex_numIfEPS3_EvbiT2_T3_lllT4_lli.has_indirect_call, 0
	.section	.AMDGPU.csdata,"",@progbits
; Kernel info:
; codeLenInByte = 1280
; TotalNumSgprs: 32
; NumVgprs: 24
; ScratchSize: 0
; MemoryBound: 0
; FloatMode: 240
; IeeeMode: 1
; LDSByteSize: 0 bytes/workgroup (compile time only)
; SGPRBlocks: 0
; VGPRBlocks: 1
; NumSGPRsForWavesPerEU: 32
; NumVGPRsForWavesPerEU: 24
; NamedBarCnt: 0
; Occupancy: 16
; WaveLimiterHint : 0
; COMPUTE_PGM_RSRC2:SCRATCH_EN: 0
; COMPUTE_PGM_RSRC2:USER_SGPR: 2
; COMPUTE_PGM_RSRC2:TRAP_HANDLER: 0
; COMPUTE_PGM_RSRC2:TGID_X_EN: 1
; COMPUTE_PGM_RSRC2:TGID_Y_EN: 1
; COMPUTE_PGM_RSRC2:TGID_Z_EN: 1
; COMPUTE_PGM_RSRC2:TIDIG_COMP_CNT: 1
	.section	.text._ZL18rocblas_hpr_kernelILi64ELi16ELi2EfPK19rocblas_complex_numIfEPS1_EvbiT2_T3_lllT4_lli,"axG",@progbits,_ZL18rocblas_hpr_kernelILi64ELi16ELi2EfPK19rocblas_complex_numIfEPS1_EvbiT2_T3_lllT4_lli,comdat
	.globl	_ZL18rocblas_hpr_kernelILi64ELi16ELi2EfPK19rocblas_complex_numIfEPS1_EvbiT2_T3_lllT4_lli ; -- Begin function _ZL18rocblas_hpr_kernelILi64ELi16ELi2EfPK19rocblas_complex_numIfEPS1_EvbiT2_T3_lllT4_lli
	.p2align	8
	.type	_ZL18rocblas_hpr_kernelILi64ELi16ELi2EfPK19rocblas_complex_numIfEPS1_EvbiT2_T3_lllT4_lli,@function
_ZL18rocblas_hpr_kernelILi64ELi16ELi2EfPK19rocblas_complex_numIfEPS1_EvbiT2_T3_lllT4_lli: ; @_ZL18rocblas_hpr_kernelILi64ELi16ELi2EfPK19rocblas_complex_numIfEPS1_EvbiT2_T3_lllT4_lli
; %bb.0:
	s_load_b96 s[20:22], s[0:1], 0x0
	s_wait_kmcnt 0x0
	s_cmp_eq_f32 s22, 0
	s_cbranch_scc1 .LBB1_24
; %bb.1:
	s_load_b32 s23, s[0:1], 0x48
	s_bfe_u32 s2, ttmp6, 0x40014
	s_lshr_b32 s3, ttmp7, 16
	s_add_co_i32 s2, s2, 1
	s_bfe_u32 s4, ttmp6, 0x40008
	s_mul_i32 s2, s3, s2
	s_getreg_b32 s25, hwreg(HW_REG_IB_STS2, 6, 4)
	s_add_co_i32 s4, s4, s2
	s_cmp_eq_u32 s25, 0
	s_cselect_b32 s24, s3, s4
	s_wait_kmcnt 0x0
	s_cmp_ge_u32 s24, s23
	s_cbranch_scc1 .LBB1_24
; %bb.2:
	s_clause 0x1
	s_load_b256 s[4:11], s[0:1], 0x10
	s_load_b256 s[12:19], s[0:1], 0x30
	v_bfe_u32 v1, v0, 10, 10
	v_and_b32_e32 v0, 0x3ff, v0
	s_wait_kmcnt 0x0
	s_lshl_b64 s[0:1], s[6:7], 3
	s_lshl_b64 s[2:3], s[14:15], 3
	s_bitcmp1_b32 s20, 0
	s_add_nc_u64 s[12:13], s[12:13], s[2:3]
	s_cselect_b32 vcc_lo, -1, 0
	s_bfe_u32 s14, ttmp6, 0x40010
	s_bfe_u32 s19, ttmp6, 0x4000c
	s_and_b32 s6, ttmp7, 0xffff
	s_add_co_i32 s14, s14, 1
	s_add_co_i32 s19, s19, 1
	s_bfe_u32 s15, ttmp6, 0x40004
	s_and_b32 s18, ttmp6, 15
	s_mul_i32 s14, s6, s14
	s_mul_i32 s19, ttmp9, s19
	s_xor_b32 s7, vcc_lo, -1
	s_add_co_i32 s15, s15, s14
	s_add_co_i32 s18, s18, s19
	s_cmp_eq_u32 s25, 0
	s_mov_b32 s25, 0
	s_cselect_b32 s6, s6, s15
	s_delay_alu instid0(SALU_CYCLE_1) | instskip(SKIP_3) | instid1(VALU_DEP_2)
	v_lshl_add_u32 v10, s6, 4, v1
	s_cselect_b32 s6, ttmp9, s18
	s_lshl_b32 s14, s21, 1
	v_lshl_add_u32 v8, s6, 7, v0
	v_dual_mov_b32 v1, 0 :: v_dual_ashrrev_i32 v11, 31, v10
	v_sub_nc_u32_e32 v0, s14, v10
	v_mad_u32 v14, v10, v10, v10
	s_delay_alu instid0(VALU_DEP_4) | instskip(NEXT) | instid1(VALU_DEP_4)
	v_dual_add_nc_u32 v12, 64, v8 :: v_dual_ashrrev_i32 v9, 31, v8
	v_mul_u64_e32 v[2:3], s[8:9], v[10:11]
	s_delay_alu instid0(VALU_DEP_4) | instskip(SKIP_1) | instid1(VALU_DEP_3)
	v_mad_u32 v0, v10, v0, v10
	s_add_nc_u64 s[14:15], s[4:5], s[0:1]
	v_ashrrev_i32_e32 v13, 31, v12
	v_cmp_gt_i32_e64 s2, s21, v8
	v_cmp_le_i32_e64 s3, s21, v8
	v_cmp_le_i32_e64 s4, v8, v10
	v_cmp_lt_i32_e64 s5, v8, v10
	v_mul_u64_e32 v[6:7], s[8:9], v[12:13]
	v_sub_nc_u32_e32 v13, v8, v10
	v_mul_u64_e32 v[4:5], s[8:9], v[8:9]
	v_dual_lshrrev_b32 v9, 31, v14 :: v_dual_lshrrev_b32 v11, 31, v0
	v_cmp_eq_u32_e64 s6, v8, v10
	v_cmp_gt_i32_e64 s1, s21, v10
	v_cmp_le_i32_e64 s0, s21, v10
	s_delay_alu instid0(VALU_DEP_4) | instskip(SKIP_3) | instid1(VALU_DEP_2)
	v_dual_add_nc_u32 v9, v14, v9 :: v_dual_add_nc_u32 v0, v0, v11
	s_and_b32 s6, s6, s2
	s_and_b32 s5, s5, s1
	v_cmp_gt_i32_e64 s1, s21, v12
	v_dual_ashrrev_i32 v9, 1, v9 :: v_dual_ashrrev_i32 v0, 1, v0
	v_cmp_lt_i32_e64 s2, v10, v12
	s_or_b32 s4, s4, s3
	v_cmp_eq_u32_e64 s3, v12, v10
	v_add_nc_u32_e32 v8, v9, v8
	v_add_nc_u32_e32 v0, v13, v0
	s_and_b32 s9, s1, s2
	s_xor_b32 s8, s5, -1
	s_xor_b32 s18, s9, -1
	s_and_b32 s20, s3, s1
	v_cndmask_b32_e32 v8, v0, v8, vcc_lo
	v_cmp_ge_i32_e32 vcc_lo, v12, v10
	s_delay_alu instid0(VALU_DEP_2)
	v_ashrrev_i32_e32 v9, 31, v8
	s_or_b32 s19, s0, vcc_lo
	s_branch .LBB1_4
.LBB1_3:                                ;   in Loop: Header=BB1_4 Depth=1
	s_wait_xcnt 0x0
	s_or_b32 exec_lo, exec_lo, s26
	s_add_co_i32 s24, s24, 0x10000
	s_delay_alu instid0(SALU_CYCLE_1)
	s_cmp_lt_u32 s24, s23
	s_cbranch_scc0 .LBB1_24
.LBB1_4:                                ; =>This Inner Loop Header: Depth=1
	s_and_b32 vcc_lo, exec_lo, s7
	s_mov_b32 s26, 0
	s_mov_b32 s21, 0
	s_mov_b32 s0, -1
	s_cbranch_vccz .LBB1_6
; %bb.5:                                ;   in Loop: Header=BB1_4 Depth=1
	s_mov_b32 s0, 0
	s_mov_b32 s21, -1
	s_and_b32 s26, s4, exec_lo
.LBB1_6:                                ;   in Loop: Header=BB1_4 Depth=1
	s_and_not1_b32 vcc_lo, exec_lo, s0
	s_cbranch_vccnz .LBB1_8
; %bb.7:                                ;   in Loop: Header=BB1_4 Depth=1
	s_and_not1_b32 s0, s21, exec_lo
	s_and_b32 s1, s5, exec_lo
	s_and_not1_b32 s2, s26, exec_lo
	s_and_b32 s3, s8, exec_lo
	s_or_b32 s21, s0, s1
	s_or_b32 s26, s2, s3
.LBB1_8:                                ;   in Loop: Header=BB1_4 Depth=1
	s_mul_u64 s[0:1], s[10:11], s[24:25]
	s_mul_u64 s[2:3], s[16:17], s[24:25]
	s_lshl_b64 s[0:1], s[0:1], 3
	s_lshl_b64 s[28:29], s[2:3], 3
	s_add_nc_u64 s[2:3], s[14:15], s[0:1]
	s_add_nc_u64 s[0:1], s[12:13], s[28:29]
	s_and_saveexec_b32 s27, s26
	s_delay_alu instid0(SALU_CYCLE_1)
	s_xor_b32 s26, exec_lo, s27
	s_cbranch_execnz .LBB1_15
; %bb.9:                                ;   in Loop: Header=BB1_4 Depth=1
	s_or_b32 exec_lo, exec_lo, s26
	v_lshl_add_u64 v[10:11], v[2:3], 3, s[2:3]
	s_and_saveexec_b32 s26, s21
	s_cbranch_execnz .LBB1_18
.LBB1_10:                               ;   in Loop: Header=BB1_4 Depth=1
	s_or_b32 exec_lo, exec_lo, s26
	s_delay_alu instid0(SALU_CYCLE_1)
	s_and_not1_b32 vcc_lo, exec_lo, s7
	s_cbranch_vccnz .LBB1_19
.LBB1_11:                               ;   in Loop: Header=BB1_4 Depth=1
	s_and_b32 s21, s9, exec_lo
	s_and_b32 s27, s18, exec_lo
	s_cbranch_execnz .LBB1_13
.LBB1_12:                               ;   in Loop: Header=BB1_4 Depth=1
	s_and_not1_b32 s26, s27, exec_lo
	s_and_b32 s27, s19, exec_lo
	s_or_b32 s21, s21, exec_lo
	s_or_b32 s27, s26, s27
.LBB1_13:                               ;   in Loop: Header=BB1_4 Depth=1
	s_delay_alu instid0(SALU_CYCLE_1)
	s_and_saveexec_b32 s26, s27
	s_cbranch_execnz .LBB1_20
; %bb.14:                               ;   in Loop: Header=BB1_4 Depth=1
	s_or_b32 exec_lo, exec_lo, s26
	s_and_saveexec_b32 s26, s21
	s_cbranch_execz .LBB1_3
	s_branch .LBB1_23
.LBB1_15:                               ;   in Loop: Header=BB1_4 Depth=1
	s_and_saveexec_b32 s27, s6
	s_cbranch_execz .LBB1_17
; %bb.16:                               ;   in Loop: Header=BB1_4 Depth=1
	v_lshl_add_u64 v[10:11], v[4:5], 3, s[2:3]
	v_lshl_add_u64 v[12:13], v[8:9], 3, s[0:1]
	global_load_b64 v[10:11], v[10:11], off
	global_load_b32 v0, v[12:13], off
	s_wait_loadcnt 0x1
	s_wait_xcnt 0x1
	v_mul_f32_e32 v11, v11, v11
	s_delay_alu instid0(VALU_DEP_1) | instskip(SKIP_1) | instid1(VALU_DEP_1)
	v_fmac_f32_e32 v11, v10, v10
	s_wait_loadcnt 0x0
	v_fmac_f32_e32 v0, s22, v11
	global_store_b64 v[12:13], v[0:1], off
.LBB1_17:                               ;   in Loop: Header=BB1_4 Depth=1
	s_wait_xcnt 0x0
	s_or_b32 exec_lo, exec_lo, s27
	s_delay_alu instid0(SALU_CYCLE_1)
	s_and_not1_b32 s21, s21, exec_lo
	s_or_b32 exec_lo, exec_lo, s26
	v_lshl_add_u64 v[10:11], v[2:3], 3, s[2:3]
	s_and_saveexec_b32 s26, s21
	s_cbranch_execz .LBB1_10
.LBB1_18:                               ;   in Loop: Header=BB1_4 Depth=1
	v_lshl_add_u64 v[12:13], v[4:5], 3, s[2:3]
	s_clause 0x1
	global_load_b64 v[14:15], v[12:13], off
	global_load_b64 v[16:17], v[10:11], off
	s_wait_xcnt 0x1
	v_lshl_add_u64 v[12:13], v[8:9], 3, s[0:1]
	global_load_b64 v[18:19], v[12:13], off
	s_wait_loadcnt 0x2
	v_dual_mul_f32 v0, s22, v14 :: v_dual_mul_f32 v14, s22, v15
	s_wait_loadcnt 0x1
	s_delay_alu instid0(VALU_DEP_1) | instskip(NEXT) | instid1(VALU_DEP_1)
	v_pk_mul_f32 v[20:21], v[0:1], v[16:17] op_sel_hi:[0,1]
	v_pk_fma_f32 v[22:23], v[14:15], v[16:17], v[20:21] op_sel:[0,1,0] op_sel_hi:[0,0,1] neg_lo:[0,0,1] neg_hi:[0,0,1]
	v_pk_fma_f32 v[14:15], v[14:15], v[16:17], v[20:21] op_sel:[0,1,0] op_sel_hi:[1,0,1]
	s_delay_alu instid0(VALU_DEP_2) | instskip(SKIP_1) | instid1(VALU_DEP_1)
	v_mov_b32_e32 v15, v23
	s_wait_loadcnt 0x0
	v_pk_add_f32 v[14:15], v[18:19], v[14:15]
	global_store_b64 v[12:13], v[14:15], off
	s_wait_xcnt 0x0
	s_or_b32 exec_lo, exec_lo, s26
	s_delay_alu instid0(SALU_CYCLE_1)
	s_and_not1_b32 vcc_lo, exec_lo, s7
	s_cbranch_vccz .LBB1_11
.LBB1_19:                               ;   in Loop: Header=BB1_4 Depth=1
	s_mov_b32 s27, 0
	s_mov_b32 s21, 0
	s_branch .LBB1_12
.LBB1_20:                               ;   in Loop: Header=BB1_4 Depth=1
	s_and_saveexec_b32 s27, s20
	s_cbranch_execz .LBB1_22
; %bb.21:                               ;   in Loop: Header=BB1_4 Depth=1
	global_load_b64 v[12:13], v[10:11], off
	v_lshl_add_u64 v[14:15], v[8:9], 3, s[0:1]
	global_load_b32 v0, v[14:15], off offset:512
	s_wait_loadcnt 0x1
	v_mul_f32_e32 v13, v13, v13
	s_delay_alu instid0(VALU_DEP_1) | instskip(SKIP_1) | instid1(VALU_DEP_1)
	v_fmac_f32_e32 v13, v12, v12
	s_wait_loadcnt 0x0
	v_fmac_f32_e32 v0, s22, v13
	global_store_b64 v[14:15], v[0:1], off offset:512
.LBB1_22:                               ;   in Loop: Header=BB1_4 Depth=1
	s_wait_xcnt 0x0
	s_or_b32 exec_lo, exec_lo, s27
	s_delay_alu instid0(SALU_CYCLE_1)
	s_and_not1_b32 s21, s21, exec_lo
	s_or_b32 exec_lo, exec_lo, s26
	s_and_saveexec_b32 s26, s21
	s_cbranch_execz .LBB1_3
.LBB1_23:                               ;   in Loop: Header=BB1_4 Depth=1
	v_lshl_add_u64 v[12:13], v[6:7], 3, s[2:3]
	s_clause 0x1
	global_load_b64 v[14:15], v[12:13], off
	global_load_b64 v[16:17], v[10:11], off
	s_wait_xcnt 0x0
	v_lshl_add_u64 v[10:11], v[8:9], 3, s[0:1]
	global_load_b64 v[12:13], v[10:11], off offset:512
	s_wait_loadcnt 0x2
	v_dual_mul_f32 v0, s22, v14 :: v_dual_mul_f32 v14, s22, v15
	s_wait_loadcnt 0x1
	s_delay_alu instid0(VALU_DEP_1) | instskip(NEXT) | instid1(VALU_DEP_1)
	v_pk_mul_f32 v[18:19], v[0:1], v[16:17] op_sel_hi:[0,1]
	v_pk_fma_f32 v[20:21], v[14:15], v[16:17], v[18:19] op_sel:[0,1,0] op_sel_hi:[0,0,1] neg_lo:[0,0,1] neg_hi:[0,0,1]
	v_pk_fma_f32 v[14:15], v[14:15], v[16:17], v[18:19] op_sel:[0,1,0] op_sel_hi:[1,0,1]
	s_delay_alu instid0(VALU_DEP_2) | instskip(SKIP_1) | instid1(VALU_DEP_1)
	v_mov_b32_e32 v15, v21
	s_wait_loadcnt 0x0
	v_pk_add_f32 v[12:13], v[12:13], v[14:15]
	global_store_b64 v[10:11], v[12:13], off offset:512
	s_branch .LBB1_3
.LBB1_24:
	s_endpgm
	.section	.rodata,"a",@progbits
	.p2align	6, 0x0
	.amdhsa_kernel _ZL18rocblas_hpr_kernelILi64ELi16ELi2EfPK19rocblas_complex_numIfEPS1_EvbiT2_T3_lllT4_lli
		.amdhsa_group_segment_fixed_size 0
		.amdhsa_private_segment_fixed_size 0
		.amdhsa_kernarg_size 76
		.amdhsa_user_sgpr_count 2
		.amdhsa_user_sgpr_dispatch_ptr 0
		.amdhsa_user_sgpr_queue_ptr 0
		.amdhsa_user_sgpr_kernarg_segment_ptr 1
		.amdhsa_user_sgpr_dispatch_id 0
		.amdhsa_user_sgpr_kernarg_preload_length 0
		.amdhsa_user_sgpr_kernarg_preload_offset 0
		.amdhsa_user_sgpr_private_segment_size 0
		.amdhsa_wavefront_size32 1
		.amdhsa_uses_dynamic_stack 0
		.amdhsa_enable_private_segment 0
		.amdhsa_system_sgpr_workgroup_id_x 1
		.amdhsa_system_sgpr_workgroup_id_y 1
		.amdhsa_system_sgpr_workgroup_id_z 1
		.amdhsa_system_sgpr_workgroup_info 0
		.amdhsa_system_vgpr_workitem_id 1
		.amdhsa_next_free_vgpr 24
		.amdhsa_next_free_sgpr 30
		.amdhsa_named_barrier_count 0
		.amdhsa_reserve_vcc 1
		.amdhsa_float_round_mode_32 0
		.amdhsa_float_round_mode_16_64 0
		.amdhsa_float_denorm_mode_32 3
		.amdhsa_float_denorm_mode_16_64 3
		.amdhsa_fp16_overflow 0
		.amdhsa_memory_ordered 1
		.amdhsa_forward_progress 1
		.amdhsa_inst_pref_size 10
		.amdhsa_round_robin_scheduling 0
		.amdhsa_exception_fp_ieee_invalid_op 0
		.amdhsa_exception_fp_denorm_src 0
		.amdhsa_exception_fp_ieee_div_zero 0
		.amdhsa_exception_fp_ieee_overflow 0
		.amdhsa_exception_fp_ieee_underflow 0
		.amdhsa_exception_fp_ieee_inexact 0
		.amdhsa_exception_int_div_zero 0
	.end_amdhsa_kernel
	.section	.text._ZL18rocblas_hpr_kernelILi64ELi16ELi2EfPK19rocblas_complex_numIfEPS1_EvbiT2_T3_lllT4_lli,"axG",@progbits,_ZL18rocblas_hpr_kernelILi64ELi16ELi2EfPK19rocblas_complex_numIfEPS1_EvbiT2_T3_lllT4_lli,comdat
.Lfunc_end1:
	.size	_ZL18rocblas_hpr_kernelILi64ELi16ELi2EfPK19rocblas_complex_numIfEPS1_EvbiT2_T3_lllT4_lli, .Lfunc_end1-_ZL18rocblas_hpr_kernelILi64ELi16ELi2EfPK19rocblas_complex_numIfEPS1_EvbiT2_T3_lllT4_lli
                                        ; -- End function
	.set _ZL18rocblas_hpr_kernelILi64ELi16ELi2EfPK19rocblas_complex_numIfEPS1_EvbiT2_T3_lllT4_lli.num_vgpr, 24
	.set _ZL18rocblas_hpr_kernelILi64ELi16ELi2EfPK19rocblas_complex_numIfEPS1_EvbiT2_T3_lllT4_lli.num_agpr, 0
	.set _ZL18rocblas_hpr_kernelILi64ELi16ELi2EfPK19rocblas_complex_numIfEPS1_EvbiT2_T3_lllT4_lli.numbered_sgpr, 30
	.set _ZL18rocblas_hpr_kernelILi64ELi16ELi2EfPK19rocblas_complex_numIfEPS1_EvbiT2_T3_lllT4_lli.num_named_barrier, 0
	.set _ZL18rocblas_hpr_kernelILi64ELi16ELi2EfPK19rocblas_complex_numIfEPS1_EvbiT2_T3_lllT4_lli.private_seg_size, 0
	.set _ZL18rocblas_hpr_kernelILi64ELi16ELi2EfPK19rocblas_complex_numIfEPS1_EvbiT2_T3_lllT4_lli.uses_vcc, 1
	.set _ZL18rocblas_hpr_kernelILi64ELi16ELi2EfPK19rocblas_complex_numIfEPS1_EvbiT2_T3_lllT4_lli.uses_flat_scratch, 0
	.set _ZL18rocblas_hpr_kernelILi64ELi16ELi2EfPK19rocblas_complex_numIfEPS1_EvbiT2_T3_lllT4_lli.has_dyn_sized_stack, 0
	.set _ZL18rocblas_hpr_kernelILi64ELi16ELi2EfPK19rocblas_complex_numIfEPS1_EvbiT2_T3_lllT4_lli.has_recursion, 0
	.set _ZL18rocblas_hpr_kernelILi64ELi16ELi2EfPK19rocblas_complex_numIfEPS1_EvbiT2_T3_lllT4_lli.has_indirect_call, 0
	.section	.AMDGPU.csdata,"",@progbits
; Kernel info:
; codeLenInByte = 1276
; TotalNumSgprs: 32
; NumVgprs: 24
; ScratchSize: 0
; MemoryBound: 0
; FloatMode: 240
; IeeeMode: 1
; LDSByteSize: 0 bytes/workgroup (compile time only)
; SGPRBlocks: 0
; VGPRBlocks: 1
; NumSGPRsForWavesPerEU: 32
; NumVGPRsForWavesPerEU: 24
; NamedBarCnt: 0
; Occupancy: 16
; WaveLimiterHint : 0
; COMPUTE_PGM_RSRC2:SCRATCH_EN: 0
; COMPUTE_PGM_RSRC2:USER_SGPR: 2
; COMPUTE_PGM_RSRC2:TRAP_HANDLER: 0
; COMPUTE_PGM_RSRC2:TGID_X_EN: 1
; COMPUTE_PGM_RSRC2:TGID_Y_EN: 1
; COMPUTE_PGM_RSRC2:TGID_Z_EN: 1
; COMPUTE_PGM_RSRC2:TIDIG_COMP_CNT: 1
	.section	.text._ZL18rocblas_hpr_kernelILi64ELi16ELi2EPKdPK19rocblas_complex_numIdEPS3_EvbiT2_T3_lllT4_lli,"axG",@progbits,_ZL18rocblas_hpr_kernelILi64ELi16ELi2EPKdPK19rocblas_complex_numIdEPS3_EvbiT2_T3_lllT4_lli,comdat
	.globl	_ZL18rocblas_hpr_kernelILi64ELi16ELi2EPKdPK19rocblas_complex_numIdEPS3_EvbiT2_T3_lllT4_lli ; -- Begin function _ZL18rocblas_hpr_kernelILi64ELi16ELi2EPKdPK19rocblas_complex_numIdEPS3_EvbiT2_T3_lllT4_lli
	.p2align	8
	.type	_ZL18rocblas_hpr_kernelILi64ELi16ELi2EPKdPK19rocblas_complex_numIdEPS3_EvbiT2_T3_lllT4_lli,@function
_ZL18rocblas_hpr_kernelILi64ELi16ELi2EPKdPK19rocblas_complex_numIdEPS3_EvbiT2_T3_lllT4_lli: ; @_ZL18rocblas_hpr_kernelILi64ELi16ELi2EPKdPK19rocblas_complex_numIdEPS3_EvbiT2_T3_lllT4_lli
; %bb.0:
	s_load_b512 s[4:19], s[0:1], 0x8
	s_wait_kmcnt 0x0
	s_load_b64 s[20:21], s[4:5], 0x0
	s_wait_kmcnt 0x0
	v_cmp_eq_f64_e64 s2, s[20:21], 0
	s_and_b32 vcc_lo, exec_lo, s2
	s_cbranch_vccnz .LBB2_24
; %bb.1:
	s_load_b32 s26, s[0:1], 0x48
	s_bfe_u32 s2, ttmp6, 0x40014
	s_lshr_b32 s3, ttmp7, 16
	s_add_co_i32 s2, s2, 1
	s_bfe_u32 s5, ttmp6, 0x40008
	s_mul_i32 s4, s3, s2
	s_getreg_b32 s2, hwreg(HW_REG_IB_STS2, 6, 4)
	s_add_co_i32 s5, s5, s4
	s_cmp_eq_u32 s2, 0
	s_mov_b32 s23, 0
	s_cselect_b32 s22, s3, s5
	s_wait_kmcnt 0x0
	s_cmp_ge_u32 s22, s26
	s_cbranch_scc1 .LBB2_24
; %bb.2:
	s_load_b64 s[24:25], s[0:1], 0x0
	s_wait_xcnt 0x0
	s_lshl_b64 s[0:1], s[8:9], 4
	s_lshl_b64 s[4:5], s[16:17], 4
	v_bfe_u32 v1, v0, 10, 10
	v_and_b32_e32 v2, 0x3ff, v0
	s_add_nc_u64 s[14:15], s[14:15], s[4:5]
	s_wait_kmcnt 0x0
	s_bitcmp1_b32 s24, 0
	s_cselect_b32 vcc_lo, -1, 0
	s_bfe_u32 s8, ttmp6, 0x40010
	s_bfe_u32 s24, ttmp6, 0x4000c
	s_and_b32 s3, ttmp7, 0xffff
	s_add_co_i32 s8, s8, 1
	s_add_co_i32 s24, s24, 1
	s_bfe_u32 s9, ttmp6, 0x40004
	s_and_b32 s17, ttmp6, 15
	s_mul_i32 s8, s3, s8
	s_mul_i32 s24, ttmp9, s24
	s_xor_b32 s16, vcc_lo, -1
	s_add_co_i32 s9, s9, s8
	s_add_co_i32 s17, s17, s24
	s_cmp_eq_u32 s2, 0
	s_cselect_b32 s2, s3, s9
	s_add_nc_u64 s[8:9], s[6:7], s[0:1]
	v_lshl_add_u32 v0, s2, 4, v1
	s_cselect_b32 s2, ttmp9, s17
	s_lshl_b32 s3, s25, 1
	v_lshl_add_u32 v10, s2, 7, v2
	s_delay_alu instid0(VALU_DEP_2) | instskip(SKIP_2) | instid1(VALU_DEP_4)
	v_dual_mov_b32 v2, 0 :: v_dual_sub_nc_u32 v1, s3, v0
	v_mad_u32 v3, v0, v0, v0
	v_cmp_gt_i32_e64 s1, s25, v0
	v_dual_add_nc_u32 v12, 64, v10 :: v_dual_ashrrev_i32 v11, 31, v10
	s_delay_alu instid0(VALU_DEP_4) | instskip(SKIP_2) | instid1(VALU_DEP_4)
	v_mad_u32 v14, v0, v1, v0
	v_ashrrev_i32_e32 v1, 31, v0
	v_cmp_gt_i32_e64 s2, s25, v10
	v_ashrrev_i32_e32 v13, 31, v12
	v_mul_u64_e32 v[6:7], s[10:11], v[10:11]
	v_cmp_lt_i32_e64 s5, v10, v0
	v_mul_u64_e32 v[4:5], s[10:11], v[0:1]
	v_lshrrev_b32_e32 v1, 31, v3
	v_mul_u64_e32 v[8:9], s[10:11], v[12:13]
	v_cmp_eq_u32_e64 s6, v10, v0
	v_cmp_le_i32_e64 s3, s25, v10
	v_dual_lshrrev_b32 v11, 31, v14 :: v_dual_sub_nc_u32 v13, v10, v0
	v_add_nc_u32_e32 v1, v3, v1
	v_cmp_le_i32_e64 s4, v10, v0
	s_and_b32 s5, s5, s1
	v_add_nc_u32_e32 v3, v14, v11
	s_and_b32 s6, s6, s2
	v_ashrrev_i32_e32 v1, 1, v1
	v_cmp_gt_i32_e64 s1, s25, v12
	v_cmp_lt_i32_e64 s2, v0, v12
	v_ashrrev_i32_e32 v3, 1, v3
	v_cmp_le_i32_e64 s0, s25, v0
	v_add_nc_u32_e32 v1, v1, v10
	s_or_b32 s4, s4, s3
	v_cmp_eq_u32_e64 s3, v12, v0
	v_add_nc_u32_e32 v3, v13, v3
	s_and_b32 s10, s1, s2
	s_xor_b32 s7, s5, -1
	s_xor_b32 s11, s10, -1
	s_and_b32 s24, s3, s1
	v_cndmask_b32_e32 v10, v3, v1, vcc_lo
	v_cmp_ge_i32_e32 vcc_lo, v12, v0
	s_delay_alu instid0(VALU_DEP_2)
	v_ashrrev_i32_e32 v11, 31, v10
	s_or_b32 s17, s0, vcc_lo
	s_branch .LBB2_4
.LBB2_3:                                ;   in Loop: Header=BB2_4 Depth=1
	s_wait_xcnt 0x0
	s_or_b32 exec_lo, exec_lo, s27
	s_add_co_i32 s22, s22, 0x10000
	s_delay_alu instid0(SALU_CYCLE_1)
	s_cmp_lt_u32 s22, s26
	s_cbranch_scc0 .LBB2_24
.LBB2_4:                                ; =>This Inner Loop Header: Depth=1
	s_mov_b32 s27, 0
	s_and_b32 vcc_lo, exec_lo, s16
	s_mov_b32 s25, 0
	s_mov_b32 s0, -1
	s_cbranch_vccz .LBB2_6
; %bb.5:                                ;   in Loop: Header=BB2_4 Depth=1
	s_mov_b32 s0, 0
	s_mov_b32 s25, -1
	s_and_b32 s27, s4, exec_lo
.LBB2_6:                                ;   in Loop: Header=BB2_4 Depth=1
	s_and_not1_b32 vcc_lo, exec_lo, s0
	s_cbranch_vccnz .LBB2_8
; %bb.7:                                ;   in Loop: Header=BB2_4 Depth=1
	s_and_not1_b32 s0, s25, exec_lo
	s_and_b32 s1, s5, exec_lo
	s_and_not1_b32 s2, s27, exec_lo
	s_and_b32 s3, s7, exec_lo
	s_or_b32 s25, s0, s1
	s_or_b32 s27, s2, s3
.LBB2_8:                                ;   in Loop: Header=BB2_4 Depth=1
	s_mul_u64 s[0:1], s[12:13], s[22:23]
	s_mul_u64 s[2:3], s[18:19], s[22:23]
	s_lshl_b64 s[0:1], s[0:1], 4
	s_lshl_b64 s[28:29], s[2:3], 4
	s_add_nc_u64 s[2:3], s[8:9], s[0:1]
	s_add_nc_u64 s[0:1], s[14:15], s[28:29]
	s_and_saveexec_b32 s28, s27
	s_delay_alu instid0(SALU_CYCLE_1)
	s_xor_b32 s27, exec_lo, s28
	s_cbranch_execnz .LBB2_15
; %bb.9:                                ;   in Loop: Header=BB2_4 Depth=1
	s_or_b32 exec_lo, exec_lo, s27
	v_lshl_add_u64 v[12:13], v[4:5], 4, s[2:3]
	s_and_saveexec_b32 s27, s25
	s_cbranch_execnz .LBB2_18
.LBB2_10:                               ;   in Loop: Header=BB2_4 Depth=1
	s_or_b32 exec_lo, exec_lo, s27
	s_delay_alu instid0(SALU_CYCLE_1)
	s_and_not1_b32 vcc_lo, exec_lo, s16
	s_cbranch_vccnz .LBB2_19
.LBB2_11:                               ;   in Loop: Header=BB2_4 Depth=1
	s_and_b32 s25, s10, exec_lo
	s_and_b32 s28, s11, exec_lo
	s_cbranch_execnz .LBB2_13
.LBB2_12:                               ;   in Loop: Header=BB2_4 Depth=1
	s_and_not1_b32 s27, s28, exec_lo
	s_and_b32 s28, s17, exec_lo
	s_or_b32 s25, s25, exec_lo
	s_or_b32 s28, s27, s28
.LBB2_13:                               ;   in Loop: Header=BB2_4 Depth=1
	s_delay_alu instid0(SALU_CYCLE_1)
	s_and_saveexec_b32 s27, s28
	s_cbranch_execnz .LBB2_20
; %bb.14:                               ;   in Loop: Header=BB2_4 Depth=1
	s_or_b32 exec_lo, exec_lo, s27
	s_and_saveexec_b32 s27, s25
	s_cbranch_execz .LBB2_3
	s_branch .LBB2_23
.LBB2_15:                               ;   in Loop: Header=BB2_4 Depth=1
	s_and_saveexec_b32 s28, s6
	s_cbranch_execz .LBB2_17
; %bb.16:                               ;   in Loop: Header=BB2_4 Depth=1
	v_lshl_add_u64 v[0:1], v[6:7], 4, s[2:3]
	v_lshl_add_u64 v[16:17], v[10:11], 4, s[0:1]
	v_mov_b32_e32 v3, v2
	global_load_b128 v[12:15], v[0:1], off
	global_load_b64 v[0:1], v[16:17], off
	s_wait_loadcnt 0x1
	v_mul_f64_e32 v[14:15], v[14:15], v[14:15]
	s_delay_alu instid0(VALU_DEP_1) | instskip(SKIP_1) | instid1(VALU_DEP_1)
	v_fmac_f64_e32 v[14:15], v[12:13], v[12:13]
	s_wait_loadcnt 0x0
	v_fmac_f64_e32 v[0:1], s[20:21], v[14:15]
	global_store_b128 v[16:17], v[0:3], off
.LBB2_17:                               ;   in Loop: Header=BB2_4 Depth=1
	s_wait_xcnt 0x0
	s_or_b32 exec_lo, exec_lo, s28
	s_delay_alu instid0(SALU_CYCLE_1)
	s_and_not1_b32 s25, s25, exec_lo
	s_or_b32 exec_lo, exec_lo, s27
	v_lshl_add_u64 v[12:13], v[4:5], 4, s[2:3]
	s_and_saveexec_b32 s27, s25
	s_cbranch_execz .LBB2_10
.LBB2_18:                               ;   in Loop: Header=BB2_4 Depth=1
	v_lshl_add_u64 v[0:1], v[6:7], 4, s[2:3]
	s_clause 0x1
	global_load_b128 v[14:17], v[0:1], off
	global_load_b128 v[18:21], v[12:13], off
	s_wait_xcnt 0x1
	v_lshl_add_u64 v[0:1], v[10:11], 4, s[0:1]
	global_load_b128 v[22:25], v[0:1], off
	s_wait_loadcnt 0x2
	v_mul_f64_e32 v[16:17], s[20:21], v[16:17]
	v_mul_f64_e32 v[14:15], s[20:21], v[14:15]
	s_wait_loadcnt 0x1
	s_delay_alu instid0(VALU_DEP_2) | instskip(NEXT) | instid1(VALU_DEP_2)
	v_mul_f64_e32 v[26:27], v[16:17], v[20:21]
	v_mul_f64_e32 v[20:21], v[14:15], v[20:21]
	s_delay_alu instid0(VALU_DEP_2) | instskip(NEXT) | instid1(VALU_DEP_2)
	v_fmac_f64_e32 v[26:27], v[14:15], v[18:19]
	v_fma_f64 v[16:17], v[18:19], v[16:17], -v[20:21]
	s_wait_loadcnt 0x0
	s_delay_alu instid0(VALU_DEP_2) | instskip(NEXT) | instid1(VALU_DEP_2)
	v_add_f64_e32 v[14:15], v[22:23], v[26:27]
	v_add_f64_e32 v[16:17], v[16:17], v[24:25]
	global_store_b128 v[0:1], v[14:17], off
	s_wait_xcnt 0x0
	s_or_b32 exec_lo, exec_lo, s27
	s_delay_alu instid0(SALU_CYCLE_1)
	s_and_not1_b32 vcc_lo, exec_lo, s16
	s_cbranch_vccz .LBB2_11
.LBB2_19:                               ;   in Loop: Header=BB2_4 Depth=1
	s_mov_b32 s28, 0
	s_mov_b32 s25, 0
	s_branch .LBB2_12
.LBB2_20:                               ;   in Loop: Header=BB2_4 Depth=1
	s_and_saveexec_b32 s28, s24
	s_cbranch_execz .LBB2_22
; %bb.21:                               ;   in Loop: Header=BB2_4 Depth=1
	global_load_b128 v[14:17], v[12:13], off
	v_lshl_add_u64 v[18:19], v[10:11], 4, s[0:1]
	v_mov_b32_e32 v3, v2
	global_load_b64 v[0:1], v[18:19], off offset:1024
	s_wait_loadcnt 0x1
	v_mul_f64_e32 v[16:17], v[16:17], v[16:17]
	s_delay_alu instid0(VALU_DEP_1) | instskip(SKIP_1) | instid1(VALU_DEP_1)
	v_fmac_f64_e32 v[16:17], v[14:15], v[14:15]
	s_wait_loadcnt 0x0
	v_fmac_f64_e32 v[0:1], s[20:21], v[16:17]
	global_store_b128 v[18:19], v[0:3], off offset:1024
.LBB2_22:                               ;   in Loop: Header=BB2_4 Depth=1
	s_wait_xcnt 0x0
	s_or_b32 exec_lo, exec_lo, s28
	s_delay_alu instid0(SALU_CYCLE_1)
	s_and_not1_b32 s25, s25, exec_lo
	s_or_b32 exec_lo, exec_lo, s27
	s_and_saveexec_b32 s27, s25
	s_cbranch_execz .LBB2_3
.LBB2_23:                               ;   in Loop: Header=BB2_4 Depth=1
	v_lshl_add_u64 v[0:1], v[8:9], 4, s[2:3]
	s_clause 0x1
	global_load_b128 v[14:17], v[0:1], off
	global_load_b128 v[18:21], v[12:13], off
	s_wait_xcnt 0x1
	v_lshl_add_u64 v[0:1], v[10:11], 4, s[0:1]
	global_load_b128 v[22:25], v[0:1], off offset:1024
	s_wait_loadcnt 0x2
	s_wait_xcnt 0x1
	v_mul_f64_e32 v[12:13], s[20:21], v[16:17]
	v_mul_f64_e32 v[14:15], s[20:21], v[14:15]
	s_wait_loadcnt 0x1
	s_delay_alu instid0(VALU_DEP_2) | instskip(NEXT) | instid1(VALU_DEP_2)
	v_mul_f64_e32 v[16:17], v[12:13], v[20:21]
	v_mul_f64_e32 v[20:21], v[14:15], v[20:21]
	s_delay_alu instid0(VALU_DEP_2) | instskip(NEXT) | instid1(VALU_DEP_2)
	v_fmac_f64_e32 v[16:17], v[14:15], v[18:19]
	v_fma_f64 v[14:15], v[18:19], v[12:13], -v[20:21]
	s_wait_loadcnt 0x0
	s_delay_alu instid0(VALU_DEP_2) | instskip(NEXT) | instid1(VALU_DEP_2)
	v_add_f64_e32 v[12:13], v[22:23], v[16:17]
	v_add_f64_e32 v[14:15], v[14:15], v[24:25]
	global_store_b128 v[0:1], v[12:15], off offset:1024
	s_branch .LBB2_3
.LBB2_24:
	s_endpgm
	.section	.rodata,"a",@progbits
	.p2align	6, 0x0
	.amdhsa_kernel _ZL18rocblas_hpr_kernelILi64ELi16ELi2EPKdPK19rocblas_complex_numIdEPS3_EvbiT2_T3_lllT4_lli
		.amdhsa_group_segment_fixed_size 0
		.amdhsa_private_segment_fixed_size 0
		.amdhsa_kernarg_size 76
		.amdhsa_user_sgpr_count 2
		.amdhsa_user_sgpr_dispatch_ptr 0
		.amdhsa_user_sgpr_queue_ptr 0
		.amdhsa_user_sgpr_kernarg_segment_ptr 1
		.amdhsa_user_sgpr_dispatch_id 0
		.amdhsa_user_sgpr_kernarg_preload_length 0
		.amdhsa_user_sgpr_kernarg_preload_offset 0
		.amdhsa_user_sgpr_private_segment_size 0
		.amdhsa_wavefront_size32 1
		.amdhsa_uses_dynamic_stack 0
		.amdhsa_enable_private_segment 0
		.amdhsa_system_sgpr_workgroup_id_x 1
		.amdhsa_system_sgpr_workgroup_id_y 1
		.amdhsa_system_sgpr_workgroup_id_z 1
		.amdhsa_system_sgpr_workgroup_info 0
		.amdhsa_system_vgpr_workitem_id 1
		.amdhsa_next_free_vgpr 28
		.amdhsa_next_free_sgpr 30
		.amdhsa_named_barrier_count 0
		.amdhsa_reserve_vcc 1
		.amdhsa_float_round_mode_32 0
		.amdhsa_float_round_mode_16_64 0
		.amdhsa_float_denorm_mode_32 3
		.amdhsa_float_denorm_mode_16_64 3
		.amdhsa_fp16_overflow 0
		.amdhsa_memory_ordered 1
		.amdhsa_forward_progress 1
		.amdhsa_inst_pref_size 10
		.amdhsa_round_robin_scheduling 0
		.amdhsa_exception_fp_ieee_invalid_op 0
		.amdhsa_exception_fp_denorm_src 0
		.amdhsa_exception_fp_ieee_div_zero 0
		.amdhsa_exception_fp_ieee_overflow 0
		.amdhsa_exception_fp_ieee_underflow 0
		.amdhsa_exception_fp_ieee_inexact 0
		.amdhsa_exception_int_div_zero 0
	.end_amdhsa_kernel
	.section	.text._ZL18rocblas_hpr_kernelILi64ELi16ELi2EPKdPK19rocblas_complex_numIdEPS3_EvbiT2_T3_lllT4_lli,"axG",@progbits,_ZL18rocblas_hpr_kernelILi64ELi16ELi2EPKdPK19rocblas_complex_numIdEPS3_EvbiT2_T3_lllT4_lli,comdat
.Lfunc_end2:
	.size	_ZL18rocblas_hpr_kernelILi64ELi16ELi2EPKdPK19rocblas_complex_numIdEPS3_EvbiT2_T3_lllT4_lli, .Lfunc_end2-_ZL18rocblas_hpr_kernelILi64ELi16ELi2EPKdPK19rocblas_complex_numIdEPS3_EvbiT2_T3_lllT4_lli
                                        ; -- End function
	.set _ZL18rocblas_hpr_kernelILi64ELi16ELi2EPKdPK19rocblas_complex_numIdEPS3_EvbiT2_T3_lllT4_lli.num_vgpr, 28
	.set _ZL18rocblas_hpr_kernelILi64ELi16ELi2EPKdPK19rocblas_complex_numIdEPS3_EvbiT2_T3_lllT4_lli.num_agpr, 0
	.set _ZL18rocblas_hpr_kernelILi64ELi16ELi2EPKdPK19rocblas_complex_numIdEPS3_EvbiT2_T3_lllT4_lli.numbered_sgpr, 30
	.set _ZL18rocblas_hpr_kernelILi64ELi16ELi2EPKdPK19rocblas_complex_numIdEPS3_EvbiT2_T3_lllT4_lli.num_named_barrier, 0
	.set _ZL18rocblas_hpr_kernelILi64ELi16ELi2EPKdPK19rocblas_complex_numIdEPS3_EvbiT2_T3_lllT4_lli.private_seg_size, 0
	.set _ZL18rocblas_hpr_kernelILi64ELi16ELi2EPKdPK19rocblas_complex_numIdEPS3_EvbiT2_T3_lllT4_lli.uses_vcc, 1
	.set _ZL18rocblas_hpr_kernelILi64ELi16ELi2EPKdPK19rocblas_complex_numIdEPS3_EvbiT2_T3_lllT4_lli.uses_flat_scratch, 0
	.set _ZL18rocblas_hpr_kernelILi64ELi16ELi2EPKdPK19rocblas_complex_numIdEPS3_EvbiT2_T3_lllT4_lli.has_dyn_sized_stack, 0
	.set _ZL18rocblas_hpr_kernelILi64ELi16ELi2EPKdPK19rocblas_complex_numIdEPS3_EvbiT2_T3_lllT4_lli.has_recursion, 0
	.set _ZL18rocblas_hpr_kernelILi64ELi16ELi2EPKdPK19rocblas_complex_numIdEPS3_EvbiT2_T3_lllT4_lli.has_indirect_call, 0
	.section	.AMDGPU.csdata,"",@progbits
; Kernel info:
; codeLenInByte = 1260
; TotalNumSgprs: 32
; NumVgprs: 28
; ScratchSize: 0
; MemoryBound: 0
; FloatMode: 240
; IeeeMode: 1
; LDSByteSize: 0 bytes/workgroup (compile time only)
; SGPRBlocks: 0
; VGPRBlocks: 1
; NumSGPRsForWavesPerEU: 32
; NumVGPRsForWavesPerEU: 28
; NamedBarCnt: 0
; Occupancy: 16
; WaveLimiterHint : 0
; COMPUTE_PGM_RSRC2:SCRATCH_EN: 0
; COMPUTE_PGM_RSRC2:USER_SGPR: 2
; COMPUTE_PGM_RSRC2:TRAP_HANDLER: 0
; COMPUTE_PGM_RSRC2:TGID_X_EN: 1
; COMPUTE_PGM_RSRC2:TGID_Y_EN: 1
; COMPUTE_PGM_RSRC2:TGID_Z_EN: 1
; COMPUTE_PGM_RSRC2:TIDIG_COMP_CNT: 1
	.section	.text._ZL18rocblas_hpr_kernelILi64ELi16ELi2EdPK19rocblas_complex_numIdEPS1_EvbiT2_T3_lllT4_lli,"axG",@progbits,_ZL18rocblas_hpr_kernelILi64ELi16ELi2EdPK19rocblas_complex_numIdEPS1_EvbiT2_T3_lllT4_lli,comdat
	.globl	_ZL18rocblas_hpr_kernelILi64ELi16ELi2EdPK19rocblas_complex_numIdEPS1_EvbiT2_T3_lllT4_lli ; -- Begin function _ZL18rocblas_hpr_kernelILi64ELi16ELi2EdPK19rocblas_complex_numIdEPS1_EvbiT2_T3_lllT4_lli
	.p2align	8
	.type	_ZL18rocblas_hpr_kernelILi64ELi16ELi2EdPK19rocblas_complex_numIdEPS1_EvbiT2_T3_lllT4_lli,@function
_ZL18rocblas_hpr_kernelILi64ELi16ELi2EdPK19rocblas_complex_numIdEPS1_EvbiT2_T3_lllT4_lli: ; @_ZL18rocblas_hpr_kernelILi64ELi16ELi2EdPK19rocblas_complex_numIdEPS1_EvbiT2_T3_lllT4_lli
; %bb.0:
	s_load_b512 s[8:23], s[0:1], 0x8
	s_wait_kmcnt 0x0
	v_cmp_eq_f64_e64 s2, s[8:9], 0
	s_and_b32 vcc_lo, exec_lo, s2
	s_cbranch_vccnz .LBB3_24
; %bb.1:
	s_load_b32 s26, s[0:1], 0x48
	s_bfe_u32 s2, ttmp6, 0x40014
	s_lshr_b32 s3, ttmp7, 16
	s_add_co_i32 s2, s2, 1
	s_bfe_u32 s5, ttmp6, 0x40008
	s_mul_i32 s4, s3, s2
	s_getreg_b32 s2, hwreg(HW_REG_IB_STS2, 6, 4)
	s_add_co_i32 s5, s5, s4
	s_cmp_eq_u32 s2, 0
	s_mov_b32 s25, 0
	s_cselect_b32 s24, s3, s5
	s_wait_kmcnt 0x0
	s_cmp_ge_u32 s24, s26
	s_cbranch_scc1 .LBB3_24
; %bb.2:
	s_load_b64 s[6:7], s[0:1], 0x0
	s_wait_xcnt 0x0
	s_lshl_b64 s[0:1], s[12:13], 4
	s_lshl_b64 s[4:5], s[20:21], 4
	v_bfe_u32 v1, v0, 10, 10
	v_and_b32_e32 v2, 0x3ff, v0
	s_add_nc_u64 s[10:11], s[10:11], s[0:1]
	s_wait_kmcnt 0x0
	s_bitcmp1_b32 s6, 0
	s_cselect_b32 vcc_lo, -1, 0
	s_bfe_u32 s6, ttmp6, 0x40010
	s_bfe_u32 s21, ttmp6, 0x4000c
	s_and_b32 s3, ttmp7, 0xffff
	s_add_co_i32 s6, s6, 1
	s_add_co_i32 s21, s21, 1
	s_bfe_u32 s12, ttmp6, 0x40004
	s_and_b32 s13, ttmp6, 15
	s_mul_i32 s6, s3, s6
	s_mul_i32 s21, ttmp9, s21
	s_xor_b32 s20, vcc_lo, -1
	s_add_co_i32 s12, s12, s6
	s_add_co_i32 s13, s13, s21
	s_cmp_eq_u32 s2, 0
	s_cselect_b32 s2, s3, s12
	s_delay_alu instid0(SALU_CYCLE_1) | instskip(SKIP_3) | instid1(VALU_DEP_2)
	v_lshl_add_u32 v0, s2, 4, v1
	s_cselect_b32 s2, ttmp9, s13
	s_lshl_b32 s3, s7, 1
	v_lshl_add_u32 v10, s2, 7, v2
	v_dual_mov_b32 v2, 0 :: v_dual_sub_nc_u32 v1, s3, v0
	v_mad_u32 v3, v0, v0, v0
	s_add_nc_u64 s[12:13], s[18:19], s[4:5]
	s_delay_alu instid0(VALU_DEP_3) | instskip(NEXT) | instid1(VALU_DEP_3)
	v_dual_add_nc_u32 v12, 64, v10 :: v_dual_ashrrev_i32 v11, 31, v10
	v_mad_u32 v14, v0, v1, v0
	v_ashrrev_i32_e32 v1, 31, v0
	v_cmp_gt_i32_e64 s1, s7, v0
	s_delay_alu instid0(VALU_DEP_4)
	v_ashrrev_i32_e32 v13, 31, v12
	v_mul_u64_e32 v[6:7], s[14:15], v[10:11]
	v_cmp_gt_i32_e64 s2, s7, v10
	v_mul_u64_e32 v[4:5], s[14:15], v[0:1]
	v_lshrrev_b32_e32 v1, 31, v3
	v_mul_u64_e32 v[8:9], s[14:15], v[12:13]
	v_cmp_lt_i32_e64 s5, v10, v0
	v_cmp_eq_u32_e64 s6, v10, v0
	v_dual_lshrrev_b32 v11, 31, v14 :: v_dual_sub_nc_u32 v13, v10, v0
	v_add_nc_u32_e32 v1, v3, v1
	v_cmp_le_i32_e64 s3, s7, v10
	v_cmp_le_i32_e64 s4, v10, v0
	s_delay_alu instid0(VALU_DEP_4)
	v_add_nc_u32_e32 v3, v14, v11
	s_and_b32 s5, s5, s1
	v_ashrrev_i32_e32 v1, 1, v1
	s_and_b32 s6, s6, s2
	v_cmp_gt_i32_e64 s1, s7, v12
	v_ashrrev_i32_e32 v3, 1, v3
	v_cmp_lt_i32_e64 s2, v0, v12
	v_add_nc_u32_e32 v1, v1, v10
	v_cmp_le_i32_e64 s0, s7, v0
	s_or_b32 s4, s4, s3
	v_add_nc_u32_e32 v3, v13, v3
	v_cmp_eq_u32_e64 s3, v12, v0
	s_and_b32 s14, s1, s2
	s_xor_b32 s7, s5, -1
	s_xor_b32 s15, s14, -1
	v_cndmask_b32_e32 v10, v3, v1, vcc_lo
	v_cmp_ge_i32_e32 vcc_lo, v12, v0
	s_and_b32 s19, s3, s1
	s_delay_alu instid0(VALU_DEP_2)
	v_ashrrev_i32_e32 v11, 31, v10
	s_or_b32 s18, s0, vcc_lo
	s_branch .LBB3_4
.LBB3_3:                                ;   in Loop: Header=BB3_4 Depth=1
	s_wait_xcnt 0x0
	s_or_b32 exec_lo, exec_lo, s27
	s_add_co_i32 s24, s24, 0x10000
	s_delay_alu instid0(SALU_CYCLE_1)
	s_cmp_lt_u32 s24, s26
	s_cbranch_scc0 .LBB3_24
.LBB3_4:                                ; =>This Inner Loop Header: Depth=1
	s_mov_b32 s27, 0
	s_and_b32 vcc_lo, exec_lo, s20
	s_mov_b32 s21, 0
	s_mov_b32 s0, -1
	s_cbranch_vccz .LBB3_6
; %bb.5:                                ;   in Loop: Header=BB3_4 Depth=1
	s_mov_b32 s0, 0
	s_mov_b32 s21, -1
	s_and_b32 s27, s4, exec_lo
.LBB3_6:                                ;   in Loop: Header=BB3_4 Depth=1
	s_and_not1_b32 vcc_lo, exec_lo, s0
	s_cbranch_vccnz .LBB3_8
; %bb.7:                                ;   in Loop: Header=BB3_4 Depth=1
	s_and_not1_b32 s0, s21, exec_lo
	s_and_b32 s1, s5, exec_lo
	s_and_not1_b32 s2, s27, exec_lo
	s_and_b32 s3, s7, exec_lo
	s_or_b32 s21, s0, s1
	s_or_b32 s27, s2, s3
.LBB3_8:                                ;   in Loop: Header=BB3_4 Depth=1
	s_mul_u64 s[0:1], s[16:17], s[24:25]
	s_mul_u64 s[2:3], s[22:23], s[24:25]
	s_lshl_b64 s[0:1], s[0:1], 4
	s_lshl_b64 s[28:29], s[2:3], 4
	s_add_nc_u64 s[2:3], s[10:11], s[0:1]
	s_add_nc_u64 s[0:1], s[12:13], s[28:29]
	s_and_saveexec_b32 s28, s27
	s_delay_alu instid0(SALU_CYCLE_1)
	s_xor_b32 s27, exec_lo, s28
	s_cbranch_execnz .LBB3_15
; %bb.9:                                ;   in Loop: Header=BB3_4 Depth=1
	s_or_b32 exec_lo, exec_lo, s27
	v_lshl_add_u64 v[12:13], v[4:5], 4, s[2:3]
	s_and_saveexec_b32 s27, s21
	s_cbranch_execnz .LBB3_18
.LBB3_10:                               ;   in Loop: Header=BB3_4 Depth=1
	s_or_b32 exec_lo, exec_lo, s27
	s_delay_alu instid0(SALU_CYCLE_1)
	s_and_not1_b32 vcc_lo, exec_lo, s20
	s_cbranch_vccnz .LBB3_19
.LBB3_11:                               ;   in Loop: Header=BB3_4 Depth=1
	s_and_b32 s21, s14, exec_lo
	s_and_b32 s28, s15, exec_lo
	s_cbranch_execnz .LBB3_13
.LBB3_12:                               ;   in Loop: Header=BB3_4 Depth=1
	s_and_not1_b32 s27, s28, exec_lo
	s_and_b32 s28, s18, exec_lo
	s_or_b32 s21, s21, exec_lo
	s_or_b32 s28, s27, s28
.LBB3_13:                               ;   in Loop: Header=BB3_4 Depth=1
	s_delay_alu instid0(SALU_CYCLE_1)
	s_and_saveexec_b32 s27, s28
	s_cbranch_execnz .LBB3_20
; %bb.14:                               ;   in Loop: Header=BB3_4 Depth=1
	s_or_b32 exec_lo, exec_lo, s27
	s_and_saveexec_b32 s27, s21
	s_cbranch_execz .LBB3_3
	s_branch .LBB3_23
.LBB3_15:                               ;   in Loop: Header=BB3_4 Depth=1
	s_and_saveexec_b32 s28, s6
	s_cbranch_execz .LBB3_17
; %bb.16:                               ;   in Loop: Header=BB3_4 Depth=1
	v_lshl_add_u64 v[0:1], v[6:7], 4, s[2:3]
	v_lshl_add_u64 v[16:17], v[10:11], 4, s[0:1]
	v_mov_b32_e32 v3, v2
	global_load_b128 v[12:15], v[0:1], off
	global_load_b64 v[0:1], v[16:17], off
	s_wait_loadcnt 0x1
	v_mul_f64_e32 v[14:15], v[14:15], v[14:15]
	s_delay_alu instid0(VALU_DEP_1) | instskip(SKIP_1) | instid1(VALU_DEP_1)
	v_fmac_f64_e32 v[14:15], v[12:13], v[12:13]
	s_wait_loadcnt 0x0
	v_fmac_f64_e32 v[0:1], s[8:9], v[14:15]
	global_store_b128 v[16:17], v[0:3], off
.LBB3_17:                               ;   in Loop: Header=BB3_4 Depth=1
	s_wait_xcnt 0x0
	s_or_b32 exec_lo, exec_lo, s28
	s_delay_alu instid0(SALU_CYCLE_1)
	s_and_not1_b32 s21, s21, exec_lo
	s_or_b32 exec_lo, exec_lo, s27
	v_lshl_add_u64 v[12:13], v[4:5], 4, s[2:3]
	s_and_saveexec_b32 s27, s21
	s_cbranch_execz .LBB3_10
.LBB3_18:                               ;   in Loop: Header=BB3_4 Depth=1
	v_lshl_add_u64 v[0:1], v[6:7], 4, s[2:3]
	s_clause 0x1
	global_load_b128 v[14:17], v[0:1], off
	global_load_b128 v[18:21], v[12:13], off
	s_wait_xcnt 0x1
	v_lshl_add_u64 v[0:1], v[10:11], 4, s[0:1]
	global_load_b128 v[22:25], v[0:1], off
	s_wait_loadcnt 0x2
	v_mul_f64_e32 v[16:17], s[8:9], v[16:17]
	v_mul_f64_e32 v[14:15], s[8:9], v[14:15]
	s_wait_loadcnt 0x1
	s_delay_alu instid0(VALU_DEP_2) | instskip(NEXT) | instid1(VALU_DEP_2)
	v_mul_f64_e32 v[26:27], v[16:17], v[20:21]
	v_mul_f64_e32 v[20:21], v[14:15], v[20:21]
	s_delay_alu instid0(VALU_DEP_2) | instskip(NEXT) | instid1(VALU_DEP_2)
	v_fmac_f64_e32 v[26:27], v[14:15], v[18:19]
	v_fma_f64 v[16:17], v[18:19], v[16:17], -v[20:21]
	s_wait_loadcnt 0x0
	s_delay_alu instid0(VALU_DEP_2) | instskip(NEXT) | instid1(VALU_DEP_2)
	v_add_f64_e32 v[14:15], v[22:23], v[26:27]
	v_add_f64_e32 v[16:17], v[16:17], v[24:25]
	global_store_b128 v[0:1], v[14:17], off
	s_wait_xcnt 0x0
	s_or_b32 exec_lo, exec_lo, s27
	s_delay_alu instid0(SALU_CYCLE_1)
	s_and_not1_b32 vcc_lo, exec_lo, s20
	s_cbranch_vccz .LBB3_11
.LBB3_19:                               ;   in Loop: Header=BB3_4 Depth=1
	s_mov_b32 s28, 0
	s_mov_b32 s21, 0
	s_branch .LBB3_12
.LBB3_20:                               ;   in Loop: Header=BB3_4 Depth=1
	s_and_saveexec_b32 s28, s19
	s_cbranch_execz .LBB3_22
; %bb.21:                               ;   in Loop: Header=BB3_4 Depth=1
	global_load_b128 v[14:17], v[12:13], off
	v_lshl_add_u64 v[18:19], v[10:11], 4, s[0:1]
	v_mov_b32_e32 v3, v2
	global_load_b64 v[0:1], v[18:19], off offset:1024
	s_wait_loadcnt 0x1
	v_mul_f64_e32 v[16:17], v[16:17], v[16:17]
	s_delay_alu instid0(VALU_DEP_1) | instskip(SKIP_1) | instid1(VALU_DEP_1)
	v_fmac_f64_e32 v[16:17], v[14:15], v[14:15]
	s_wait_loadcnt 0x0
	v_fmac_f64_e32 v[0:1], s[8:9], v[16:17]
	global_store_b128 v[18:19], v[0:3], off offset:1024
.LBB3_22:                               ;   in Loop: Header=BB3_4 Depth=1
	s_wait_xcnt 0x0
	s_or_b32 exec_lo, exec_lo, s28
	s_delay_alu instid0(SALU_CYCLE_1)
	s_and_not1_b32 s21, s21, exec_lo
	s_or_b32 exec_lo, exec_lo, s27
	s_and_saveexec_b32 s27, s21
	s_cbranch_execz .LBB3_3
.LBB3_23:                               ;   in Loop: Header=BB3_4 Depth=1
	v_lshl_add_u64 v[0:1], v[8:9], 4, s[2:3]
	s_clause 0x1
	global_load_b128 v[14:17], v[0:1], off
	global_load_b128 v[18:21], v[12:13], off
	s_wait_xcnt 0x1
	v_lshl_add_u64 v[0:1], v[10:11], 4, s[0:1]
	global_load_b128 v[22:25], v[0:1], off offset:1024
	s_wait_loadcnt 0x2
	s_wait_xcnt 0x1
	v_mul_f64_e32 v[12:13], s[8:9], v[16:17]
	v_mul_f64_e32 v[14:15], s[8:9], v[14:15]
	s_wait_loadcnt 0x1
	s_delay_alu instid0(VALU_DEP_2) | instskip(NEXT) | instid1(VALU_DEP_2)
	v_mul_f64_e32 v[16:17], v[12:13], v[20:21]
	v_mul_f64_e32 v[20:21], v[14:15], v[20:21]
	s_delay_alu instid0(VALU_DEP_2) | instskip(NEXT) | instid1(VALU_DEP_2)
	v_fmac_f64_e32 v[16:17], v[14:15], v[18:19]
	v_fma_f64 v[14:15], v[18:19], v[12:13], -v[20:21]
	s_wait_loadcnt 0x0
	s_delay_alu instid0(VALU_DEP_2) | instskip(NEXT) | instid1(VALU_DEP_2)
	v_add_f64_e32 v[12:13], v[22:23], v[16:17]
	v_add_f64_e32 v[14:15], v[14:15], v[24:25]
	global_store_b128 v[0:1], v[12:15], off offset:1024
	s_branch .LBB3_3
.LBB3_24:
	s_endpgm
	.section	.rodata,"a",@progbits
	.p2align	6, 0x0
	.amdhsa_kernel _ZL18rocblas_hpr_kernelILi64ELi16ELi2EdPK19rocblas_complex_numIdEPS1_EvbiT2_T3_lllT4_lli
		.amdhsa_group_segment_fixed_size 0
		.amdhsa_private_segment_fixed_size 0
		.amdhsa_kernarg_size 76
		.amdhsa_user_sgpr_count 2
		.amdhsa_user_sgpr_dispatch_ptr 0
		.amdhsa_user_sgpr_queue_ptr 0
		.amdhsa_user_sgpr_kernarg_segment_ptr 1
		.amdhsa_user_sgpr_dispatch_id 0
		.amdhsa_user_sgpr_kernarg_preload_length 0
		.amdhsa_user_sgpr_kernarg_preload_offset 0
		.amdhsa_user_sgpr_private_segment_size 0
		.amdhsa_wavefront_size32 1
		.amdhsa_uses_dynamic_stack 0
		.amdhsa_enable_private_segment 0
		.amdhsa_system_sgpr_workgroup_id_x 1
		.amdhsa_system_sgpr_workgroup_id_y 1
		.amdhsa_system_sgpr_workgroup_id_z 1
		.amdhsa_system_sgpr_workgroup_info 0
		.amdhsa_system_vgpr_workitem_id 1
		.amdhsa_next_free_vgpr 28
		.amdhsa_next_free_sgpr 30
		.amdhsa_named_barrier_count 0
		.amdhsa_reserve_vcc 1
		.amdhsa_float_round_mode_32 0
		.amdhsa_float_round_mode_16_64 0
		.amdhsa_float_denorm_mode_32 3
		.amdhsa_float_denorm_mode_16_64 3
		.amdhsa_fp16_overflow 0
		.amdhsa_memory_ordered 1
		.amdhsa_forward_progress 1
		.amdhsa_inst_pref_size 10
		.amdhsa_round_robin_scheduling 0
		.amdhsa_exception_fp_ieee_invalid_op 0
		.amdhsa_exception_fp_denorm_src 0
		.amdhsa_exception_fp_ieee_div_zero 0
		.amdhsa_exception_fp_ieee_overflow 0
		.amdhsa_exception_fp_ieee_underflow 0
		.amdhsa_exception_fp_ieee_inexact 0
		.amdhsa_exception_int_div_zero 0
	.end_amdhsa_kernel
	.section	.text._ZL18rocblas_hpr_kernelILi64ELi16ELi2EdPK19rocblas_complex_numIdEPS1_EvbiT2_T3_lllT4_lli,"axG",@progbits,_ZL18rocblas_hpr_kernelILi64ELi16ELi2EdPK19rocblas_complex_numIdEPS1_EvbiT2_T3_lllT4_lli,comdat
.Lfunc_end3:
	.size	_ZL18rocblas_hpr_kernelILi64ELi16ELi2EdPK19rocblas_complex_numIdEPS1_EvbiT2_T3_lllT4_lli, .Lfunc_end3-_ZL18rocblas_hpr_kernelILi64ELi16ELi2EdPK19rocblas_complex_numIdEPS1_EvbiT2_T3_lllT4_lli
                                        ; -- End function
	.set _ZL18rocblas_hpr_kernelILi64ELi16ELi2EdPK19rocblas_complex_numIdEPS1_EvbiT2_T3_lllT4_lli.num_vgpr, 28
	.set _ZL18rocblas_hpr_kernelILi64ELi16ELi2EdPK19rocblas_complex_numIdEPS1_EvbiT2_T3_lllT4_lli.num_agpr, 0
	.set _ZL18rocblas_hpr_kernelILi64ELi16ELi2EdPK19rocblas_complex_numIdEPS1_EvbiT2_T3_lllT4_lli.numbered_sgpr, 30
	.set _ZL18rocblas_hpr_kernelILi64ELi16ELi2EdPK19rocblas_complex_numIdEPS1_EvbiT2_T3_lllT4_lli.num_named_barrier, 0
	.set _ZL18rocblas_hpr_kernelILi64ELi16ELi2EdPK19rocblas_complex_numIdEPS1_EvbiT2_T3_lllT4_lli.private_seg_size, 0
	.set _ZL18rocblas_hpr_kernelILi64ELi16ELi2EdPK19rocblas_complex_numIdEPS1_EvbiT2_T3_lllT4_lli.uses_vcc, 1
	.set _ZL18rocblas_hpr_kernelILi64ELi16ELi2EdPK19rocblas_complex_numIdEPS1_EvbiT2_T3_lllT4_lli.uses_flat_scratch, 0
	.set _ZL18rocblas_hpr_kernelILi64ELi16ELi2EdPK19rocblas_complex_numIdEPS1_EvbiT2_T3_lllT4_lli.has_dyn_sized_stack, 0
	.set _ZL18rocblas_hpr_kernelILi64ELi16ELi2EdPK19rocblas_complex_numIdEPS1_EvbiT2_T3_lllT4_lli.has_recursion, 0
	.set _ZL18rocblas_hpr_kernelILi64ELi16ELi2EdPK19rocblas_complex_numIdEPS1_EvbiT2_T3_lllT4_lli.has_indirect_call, 0
	.section	.AMDGPU.csdata,"",@progbits
; Kernel info:
; codeLenInByte = 1256
; TotalNumSgprs: 32
; NumVgprs: 28
; ScratchSize: 0
; MemoryBound: 0
; FloatMode: 240
; IeeeMode: 1
; LDSByteSize: 0 bytes/workgroup (compile time only)
; SGPRBlocks: 0
; VGPRBlocks: 1
; NumSGPRsForWavesPerEU: 32
; NumVGPRsForWavesPerEU: 28
; NamedBarCnt: 0
; Occupancy: 16
; WaveLimiterHint : 0
; COMPUTE_PGM_RSRC2:SCRATCH_EN: 0
; COMPUTE_PGM_RSRC2:USER_SGPR: 2
; COMPUTE_PGM_RSRC2:TRAP_HANDLER: 0
; COMPUTE_PGM_RSRC2:TGID_X_EN: 1
; COMPUTE_PGM_RSRC2:TGID_Y_EN: 1
; COMPUTE_PGM_RSRC2:TGID_Z_EN: 1
; COMPUTE_PGM_RSRC2:TIDIG_COMP_CNT: 1
	.section	.text._ZL18rocblas_hpr_kernelILi64ELi16ELi2EPKfPKPK19rocblas_complex_numIfEPKPS3_EvbiT2_T3_lllT4_lli,"axG",@progbits,_ZL18rocblas_hpr_kernelILi64ELi16ELi2EPKfPKPK19rocblas_complex_numIfEPKPS3_EvbiT2_T3_lllT4_lli,comdat
	.globl	_ZL18rocblas_hpr_kernelILi64ELi16ELi2EPKfPKPK19rocblas_complex_numIfEPKPS3_EvbiT2_T3_lllT4_lli ; -- Begin function _ZL18rocblas_hpr_kernelILi64ELi16ELi2EPKfPKPK19rocblas_complex_numIfEPKPS3_EvbiT2_T3_lllT4_lli
	.p2align	8
	.type	_ZL18rocblas_hpr_kernelILi64ELi16ELi2EPKfPKPK19rocblas_complex_numIfEPKPS3_EvbiT2_T3_lllT4_lli,@function
_ZL18rocblas_hpr_kernelILi64ELi16ELi2EPKfPKPK19rocblas_complex_numIfEPKPS3_EvbiT2_T3_lllT4_lli: ; @_ZL18rocblas_hpr_kernelILi64ELi16ELi2EPKfPKPK19rocblas_complex_numIfEPKPS3_EvbiT2_T3_lllT4_lli
; %bb.0:
	s_load_b256 s[8:15], s[0:1], 0x8
	s_wait_kmcnt 0x0
	s_load_b32 s8, s[8:9], 0x0
	s_wait_kmcnt 0x0
	s_cmp_eq_f32 s8, 0
	s_cbranch_scc1 .LBB4_24
; %bb.1:
	s_load_b32 s9, s[0:1], 0x48
	s_bfe_u32 s2, ttmp6, 0x40014
	s_lshr_b32 s3, ttmp7, 16
	s_add_co_i32 s2, s2, 1
	s_bfe_u32 s5, ttmp6, 0x40008
	s_mul_i32 s4, s3, s2
	s_getreg_b32 s2, hwreg(HW_REG_IB_STS2, 6, 4)
	s_add_co_i32 s5, s5, s4
	s_cmp_eq_u32 s2, 0
	s_cselect_b32 s20, s3, s5
	s_wait_kmcnt 0x0
	s_cmp_ge_u32 s20, s9
	s_cbranch_scc1 .LBB4_24
; %bb.2:
	s_clause 0x1
	s_load_b64 s[6:7], s[0:1], 0x0
	s_load_b128 s[16:19], s[0:1], 0x30
	v_bfe_u32 v1, v0, 10, 10
	v_and_b32_e32 v0, 0x3ff, v0
	s_wait_kmcnt 0x0
	s_bitcmp1_b32 s6, 0
	s_cselect_b32 vcc_lo, -1, 0
	s_bfe_u32 s1, ttmp6, 0x40010
	s_bfe_u32 s5, ttmp6, 0x4000c
	s_and_b32 s0, ttmp7, 0xffff
	s_add_co_i32 s1, s1, 1
	s_add_co_i32 s5, s5, 1
	s_bfe_u32 s3, ttmp6, 0x40004
	s_and_b32 s4, ttmp6, 15
	s_mul_i32 s1, s0, s1
	s_mul_i32 s5, ttmp9, s5
	s_xor_b32 s21, vcc_lo, -1
	s_add_co_i32 s3, s3, s1
	s_add_co_i32 s4, s4, s5
	s_cmp_eq_u32 s2, 0
	s_cselect_b32 s0, s0, s3
	s_delay_alu instid0(SALU_CYCLE_1) | instskip(SKIP_3) | instid1(VALU_DEP_2)
	v_lshl_add_u32 v8, s0, 4, v1
	s_cselect_b32 s0, ttmp9, s4
	s_lshl_b32 s1, s7, 1
	v_lshl_add_u32 v10, s0, 7, v0
	v_dual_mov_b32 v1, 0 :: v_dual_ashrrev_i32 v9, 31, v8
	v_sub_nc_u32_e32 v0, s1, v8
	v_mad_u32 v14, v8, v8, v8
	s_delay_alu instid0(VALU_DEP_4) | instskip(NEXT) | instid1(VALU_DEP_4)
	v_dual_add_nc_u32 v12, 64, v10 :: v_dual_ashrrev_i32 v11, 31, v10
	v_mul_u64_e32 v[2:3], s[14:15], v[8:9]
	s_delay_alu instid0(VALU_DEP_4) | instskip(SKIP_1) | instid1(VALU_DEP_4)
	v_mad_u32 v0, v8, v0, v8
	v_sub_nc_u32_e32 v15, v10, v8
	v_ashrrev_i32_e32 v13, 31, v12
	v_mul_u64_e32 v[4:5], s[14:15], v[10:11]
	v_cmp_gt_i32_e64 s2, s7, v10
	v_cmp_le_i32_e64 s3, s7, v10
	v_cmp_le_i32_e64 s4, v10, v8
	v_mul_u64_e32 v[6:7], s[14:15], v[12:13]
	v_lshrrev_b32_e32 v9, 31, v14
	v_cmp_eq_u32_e64 s6, v10, v8
	v_cmp_gt_i32_e64 s1, s7, v8
	v_lshrrev_b32_e32 v11, 31, v0
	v_cmp_lt_i32_e64 s5, v10, v8
	v_add_nc_u32_e32 v9, v14, v9
	v_cmp_le_i32_e64 s0, s7, v8
	s_or_b32 s14, s4, s3
	v_add_nc_u32_e32 v0, v0, v11
	s_and_b32 s6, s6, s2
	v_ashrrev_i32_e32 v9, 1, v9
	v_cmp_lt_i32_e64 s2, v8, v12
	v_cmp_ge_i32_e64 s3, v12, v8
	v_ashrrev_i32_e32 v0, 1, v0
	v_cmp_eq_u32_e64 s4, v12, v8
	v_add_nc_u32_e32 v9, v9, v10
	s_and_b32 s5, s5, s1
	v_cmp_gt_i32_e64 s1, s7, v12
	v_add_nc_u32_e32 v0, v15, v0
	s_xor_b32 s7, s5, -1
	s_or_b32 s22, s0, s3
	s_and_b32 s15, s1, s2
	s_delay_alu instid0(VALU_DEP_1)
	v_cndmask_b32_e32 v8, v0, v9, vcc_lo
	s_xor_b32 s23, s15, -1
	s_and_b32 s4, s4, s1
	s_lshl_b64 s[0:1], s[12:13], 3
	s_lshl_b64 s[2:3], s[18:19], 3
	v_ashrrev_i32_e32 v9, 31, v8
	s_branch .LBB4_4
.LBB4_3:                                ;   in Loop: Header=BB4_4 Depth=1
	s_wait_xcnt 0x0
	s_or_b32 exec_lo, exec_lo, s13
	s_add_co_i32 s20, s20, 0x10000
	s_delay_alu instid0(SALU_CYCLE_1)
	s_cmp_lt_u32 s20, s9
	s_cbranch_scc0 .LBB4_24
.LBB4_4:                                ; =>This Inner Loop Header: Depth=1
	v_mov_b32_e32 v0, s20
	s_and_b32 vcc_lo, exec_lo, s21
	s_mov_b32 s13, 0
	s_mov_b32 s12, 0
	s_mov_b32 s18, -1
	s_clause 0x1
	global_load_b64 v[10:11], v0, s[10:11] scale_offset
	global_load_b64 v[14:15], v0, s[16:17] scale_offset
	s_cbranch_vccz .LBB4_6
; %bb.5:                                ;   in Loop: Header=BB4_4 Depth=1
	s_mov_b32 s18, 0
	s_mov_b32 s12, -1
	s_and_b32 s13, s14, exec_lo
.LBB4_6:                                ;   in Loop: Header=BB4_4 Depth=1
	s_and_not1_b32 vcc_lo, exec_lo, s18
	s_cbranch_vccnz .LBB4_8
; %bb.7:                                ;   in Loop: Header=BB4_4 Depth=1
	s_and_not1_b32 s12, s12, exec_lo
	s_and_b32 s18, s5, exec_lo
	s_and_not1_b32 s13, s13, exec_lo
	s_and_b32 s19, s7, exec_lo
	s_or_b32 s12, s12, s18
	s_or_b32 s13, s13, s19
.LBB4_8:                                ;   in Loop: Header=BB4_4 Depth=1
	s_wait_loadcnt 0x1
	v_add_nc_u64_e32 v[12:13], s[0:1], v[10:11]
	s_wait_loadcnt 0x0
	v_add_nc_u64_e32 v[10:11], s[2:3], v[14:15]
	s_wait_xcnt 0x0
	s_and_saveexec_b32 s18, s13
	s_delay_alu instid0(SALU_CYCLE_1)
	s_xor_b32 s13, exec_lo, s18
	s_cbranch_execnz .LBB4_15
; %bb.9:                                ;   in Loop: Header=BB4_4 Depth=1
	s_or_b32 exec_lo, exec_lo, s13
	v_lshl_add_u64 v[14:15], v[2:3], 3, v[12:13]
	s_and_saveexec_b32 s13, s12
	s_cbranch_execnz .LBB4_18
.LBB4_10:                               ;   in Loop: Header=BB4_4 Depth=1
	s_or_b32 exec_lo, exec_lo, s13
	s_delay_alu instid0(SALU_CYCLE_1)
	s_and_not1_b32 vcc_lo, exec_lo, s21
	s_cbranch_vccnz .LBB4_19
.LBB4_11:                               ;   in Loop: Header=BB4_4 Depth=1
	s_and_b32 s12, s15, exec_lo
	s_and_b32 s18, s23, exec_lo
	s_cbranch_execnz .LBB4_13
.LBB4_12:                               ;   in Loop: Header=BB4_4 Depth=1
	s_and_not1_b32 s13, s18, exec_lo
	s_and_b32 s18, s22, exec_lo
	s_or_b32 s12, s12, exec_lo
	s_or_b32 s18, s13, s18
.LBB4_13:                               ;   in Loop: Header=BB4_4 Depth=1
	s_delay_alu instid0(SALU_CYCLE_1)
	s_and_saveexec_b32 s13, s18
	s_cbranch_execnz .LBB4_20
; %bb.14:                               ;   in Loop: Header=BB4_4 Depth=1
	s_or_b32 exec_lo, exec_lo, s13
	s_and_saveexec_b32 s13, s12
	s_cbranch_execz .LBB4_3
	s_branch .LBB4_23
.LBB4_15:                               ;   in Loop: Header=BB4_4 Depth=1
	s_and_saveexec_b32 s18, s6
	s_cbranch_execz .LBB4_17
; %bb.16:                               ;   in Loop: Header=BB4_4 Depth=1
	v_lshl_add_u64 v[14:15], v[4:5], 3, v[12:13]
	v_lshl_add_u64 v[16:17], v[8:9], 3, v[10:11]
	flat_load_b64 v[14:15], v[14:15]
	flat_load_b32 v0, v[16:17]
	s_wait_loadcnt_dscnt 0x101
	s_wait_xcnt 0x1
	v_mul_f32_e32 v15, v15, v15
	s_delay_alu instid0(VALU_DEP_1) | instskip(SKIP_1) | instid1(VALU_DEP_1)
	v_fmac_f32_e32 v15, v14, v14
	s_wait_loadcnt_dscnt 0x0
	v_fmac_f32_e32 v0, s8, v15
	flat_store_b64 v[16:17], v[0:1]
.LBB4_17:                               ;   in Loop: Header=BB4_4 Depth=1
	s_wait_xcnt 0x0
	s_or_b32 exec_lo, exec_lo, s18
	s_delay_alu instid0(SALU_CYCLE_1)
	s_and_not1_b32 s12, s12, exec_lo
	s_or_b32 exec_lo, exec_lo, s13
	v_lshl_add_u64 v[14:15], v[2:3], 3, v[12:13]
	s_and_saveexec_b32 s13, s12
	s_cbranch_execz .LBB4_10
.LBB4_18:                               ;   in Loop: Header=BB4_4 Depth=1
	v_lshl_add_u64 v[16:17], v[4:5], 3, v[12:13]
	s_clause 0x1
	flat_load_b64 v[18:19], v[16:17]
	flat_load_b64 v[20:21], v[14:15]
	s_wait_xcnt 0x1
	v_lshl_add_u64 v[16:17], v[8:9], 3, v[10:11]
	flat_load_b64 v[22:23], v[16:17]
	s_wait_loadcnt_dscnt 0x202
	v_dual_mul_f32 v0, s8, v18 :: v_dual_mul_f32 v18, s8, v19
	s_wait_loadcnt_dscnt 0x101
	s_delay_alu instid0(VALU_DEP_1) | instskip(NEXT) | instid1(VALU_DEP_1)
	v_pk_mul_f32 v[24:25], v[0:1], v[20:21] op_sel_hi:[0,1]
	v_pk_fma_f32 v[26:27], v[18:19], v[20:21], v[24:25] op_sel:[0,1,0] op_sel_hi:[0,0,1] neg_lo:[0,0,1] neg_hi:[0,0,1]
	v_pk_fma_f32 v[18:19], v[18:19], v[20:21], v[24:25] op_sel:[0,1,0] op_sel_hi:[1,0,1]
	s_delay_alu instid0(VALU_DEP_2) | instskip(SKIP_1) | instid1(VALU_DEP_1)
	v_mov_b32_e32 v19, v27
	s_wait_loadcnt_dscnt 0x0
	v_pk_add_f32 v[18:19], v[22:23], v[18:19]
	flat_store_b64 v[16:17], v[18:19]
	s_wait_xcnt 0x0
	s_or_b32 exec_lo, exec_lo, s13
	s_delay_alu instid0(SALU_CYCLE_1)
	s_and_not1_b32 vcc_lo, exec_lo, s21
	s_cbranch_vccz .LBB4_11
.LBB4_19:                               ;   in Loop: Header=BB4_4 Depth=1
	s_mov_b32 s18, 0
	s_mov_b32 s12, 0
	s_branch .LBB4_12
.LBB4_20:                               ;   in Loop: Header=BB4_4 Depth=1
	s_and_saveexec_b32 s18, s4
	s_cbranch_execz .LBB4_22
; %bb.21:                               ;   in Loop: Header=BB4_4 Depth=1
	flat_load_b64 v[16:17], v[14:15]
	v_lshl_add_u64 v[18:19], v[8:9], 3, v[10:11]
	flat_load_b32 v0, v[18:19] offset:512
	s_wait_loadcnt_dscnt 0x101
	v_mul_f32_e32 v17, v17, v17
	s_delay_alu instid0(VALU_DEP_1) | instskip(SKIP_1) | instid1(VALU_DEP_1)
	v_fmac_f32_e32 v17, v16, v16
	s_wait_loadcnt_dscnt 0x0
	v_fmac_f32_e32 v0, s8, v17
	flat_store_b64 v[18:19], v[0:1] offset:512
.LBB4_22:                               ;   in Loop: Header=BB4_4 Depth=1
	s_wait_xcnt 0x0
	s_or_b32 exec_lo, exec_lo, s18
	s_delay_alu instid0(SALU_CYCLE_1)
	s_and_not1_b32 s12, s12, exec_lo
	s_or_b32 exec_lo, exec_lo, s13
	s_and_saveexec_b32 s13, s12
	s_cbranch_execz .LBB4_3
.LBB4_23:                               ;   in Loop: Header=BB4_4 Depth=1
	v_lshl_add_u64 v[12:13], v[6:7], 3, v[12:13]
	v_lshl_add_u64 v[10:11], v[8:9], 3, v[10:11]
	s_clause 0x1
	flat_load_b64 v[16:17], v[12:13]
	flat_load_b64 v[18:19], v[14:15]
	flat_load_b64 v[12:13], v[10:11] offset:512
	s_wait_loadcnt_dscnt 0x202
	s_wait_xcnt 0x1
	v_dual_mul_f32 v0, s8, v16 :: v_dual_mul_f32 v14, s8, v17
	s_wait_loadcnt_dscnt 0x101
	s_delay_alu instid0(VALU_DEP_1) | instskip(NEXT) | instid1(VALU_DEP_1)
	v_pk_mul_f32 v[16:17], v[0:1], v[18:19] op_sel_hi:[0,1]
	v_pk_fma_f32 v[20:21], v[14:15], v[18:19], v[16:17] op_sel:[0,1,0] op_sel_hi:[0,0,1] neg_lo:[0,0,1] neg_hi:[0,0,1]
	v_pk_fma_f32 v[14:15], v[14:15], v[18:19], v[16:17] op_sel:[0,1,0] op_sel_hi:[1,0,1]
	s_delay_alu instid0(VALU_DEP_2) | instskip(SKIP_1) | instid1(VALU_DEP_1)
	v_mov_b32_e32 v15, v21
	s_wait_loadcnt_dscnt 0x0
	v_pk_add_f32 v[12:13], v[12:13], v[14:15]
	flat_store_b64 v[10:11], v[12:13] offset:512
	s_branch .LBB4_3
.LBB4_24:
	s_endpgm
	.section	.rodata,"a",@progbits
	.p2align	6, 0x0
	.amdhsa_kernel _ZL18rocblas_hpr_kernelILi64ELi16ELi2EPKfPKPK19rocblas_complex_numIfEPKPS3_EvbiT2_T3_lllT4_lli
		.amdhsa_group_segment_fixed_size 0
		.amdhsa_private_segment_fixed_size 0
		.amdhsa_kernarg_size 76
		.amdhsa_user_sgpr_count 2
		.amdhsa_user_sgpr_dispatch_ptr 0
		.amdhsa_user_sgpr_queue_ptr 0
		.amdhsa_user_sgpr_kernarg_segment_ptr 1
		.amdhsa_user_sgpr_dispatch_id 0
		.amdhsa_user_sgpr_kernarg_preload_length 0
		.amdhsa_user_sgpr_kernarg_preload_offset 0
		.amdhsa_user_sgpr_private_segment_size 0
		.amdhsa_wavefront_size32 1
		.amdhsa_uses_dynamic_stack 0
		.amdhsa_enable_private_segment 0
		.amdhsa_system_sgpr_workgroup_id_x 1
		.amdhsa_system_sgpr_workgroup_id_y 1
		.amdhsa_system_sgpr_workgroup_id_z 1
		.amdhsa_system_sgpr_workgroup_info 0
		.amdhsa_system_vgpr_workitem_id 1
		.amdhsa_next_free_vgpr 28
		.amdhsa_next_free_sgpr 24
		.amdhsa_named_barrier_count 0
		.amdhsa_reserve_vcc 1
		.amdhsa_float_round_mode_32 0
		.amdhsa_float_round_mode_16_64 0
		.amdhsa_float_denorm_mode_32 3
		.amdhsa_float_denorm_mode_16_64 3
		.amdhsa_fp16_overflow 0
		.amdhsa_memory_ordered 1
		.amdhsa_forward_progress 1
		.amdhsa_inst_pref_size 11
		.amdhsa_round_robin_scheduling 0
		.amdhsa_exception_fp_ieee_invalid_op 0
		.amdhsa_exception_fp_denorm_src 0
		.amdhsa_exception_fp_ieee_div_zero 0
		.amdhsa_exception_fp_ieee_overflow 0
		.amdhsa_exception_fp_ieee_underflow 0
		.amdhsa_exception_fp_ieee_inexact 0
		.amdhsa_exception_int_div_zero 0
	.end_amdhsa_kernel
	.section	.text._ZL18rocblas_hpr_kernelILi64ELi16ELi2EPKfPKPK19rocblas_complex_numIfEPKPS3_EvbiT2_T3_lllT4_lli,"axG",@progbits,_ZL18rocblas_hpr_kernelILi64ELi16ELi2EPKfPKPK19rocblas_complex_numIfEPKPS3_EvbiT2_T3_lllT4_lli,comdat
.Lfunc_end4:
	.size	_ZL18rocblas_hpr_kernelILi64ELi16ELi2EPKfPKPK19rocblas_complex_numIfEPKPS3_EvbiT2_T3_lllT4_lli, .Lfunc_end4-_ZL18rocblas_hpr_kernelILi64ELi16ELi2EPKfPKPK19rocblas_complex_numIfEPKPS3_EvbiT2_T3_lllT4_lli
                                        ; -- End function
	.set _ZL18rocblas_hpr_kernelILi64ELi16ELi2EPKfPKPK19rocblas_complex_numIfEPKPS3_EvbiT2_T3_lllT4_lli.num_vgpr, 28
	.set _ZL18rocblas_hpr_kernelILi64ELi16ELi2EPKfPKPK19rocblas_complex_numIfEPKPS3_EvbiT2_T3_lllT4_lli.num_agpr, 0
	.set _ZL18rocblas_hpr_kernelILi64ELi16ELi2EPKfPKPK19rocblas_complex_numIfEPKPS3_EvbiT2_T3_lllT4_lli.numbered_sgpr, 24
	.set _ZL18rocblas_hpr_kernelILi64ELi16ELi2EPKfPKPK19rocblas_complex_numIfEPKPS3_EvbiT2_T3_lllT4_lli.num_named_barrier, 0
	.set _ZL18rocblas_hpr_kernelILi64ELi16ELi2EPKfPKPK19rocblas_complex_numIfEPKPS3_EvbiT2_T3_lllT4_lli.private_seg_size, 0
	.set _ZL18rocblas_hpr_kernelILi64ELi16ELi2EPKfPKPK19rocblas_complex_numIfEPKPS3_EvbiT2_T3_lllT4_lli.uses_vcc, 1
	.set _ZL18rocblas_hpr_kernelILi64ELi16ELi2EPKfPKPK19rocblas_complex_numIfEPKPS3_EvbiT2_T3_lllT4_lli.uses_flat_scratch, 1
	.set _ZL18rocblas_hpr_kernelILi64ELi16ELi2EPKfPKPK19rocblas_complex_numIfEPKPS3_EvbiT2_T3_lllT4_lli.has_dyn_sized_stack, 0
	.set _ZL18rocblas_hpr_kernelILi64ELi16ELi2EPKfPKPK19rocblas_complex_numIfEPKPS3_EvbiT2_T3_lllT4_lli.has_recursion, 0
	.set _ZL18rocblas_hpr_kernelILi64ELi16ELi2EPKfPKPK19rocblas_complex_numIfEPKPS3_EvbiT2_T3_lllT4_lli.has_indirect_call, 0
	.section	.AMDGPU.csdata,"",@progbits
; Kernel info:
; codeLenInByte = 1292
; TotalNumSgprs: 26
; NumVgprs: 28
; ScratchSize: 0
; MemoryBound: 0
; FloatMode: 240
; IeeeMode: 1
; LDSByteSize: 0 bytes/workgroup (compile time only)
; SGPRBlocks: 0
; VGPRBlocks: 1
; NumSGPRsForWavesPerEU: 26
; NumVGPRsForWavesPerEU: 28
; NamedBarCnt: 0
; Occupancy: 16
; WaveLimiterHint : 1
; COMPUTE_PGM_RSRC2:SCRATCH_EN: 0
; COMPUTE_PGM_RSRC2:USER_SGPR: 2
; COMPUTE_PGM_RSRC2:TRAP_HANDLER: 0
; COMPUTE_PGM_RSRC2:TGID_X_EN: 1
; COMPUTE_PGM_RSRC2:TGID_Y_EN: 1
; COMPUTE_PGM_RSRC2:TGID_Z_EN: 1
; COMPUTE_PGM_RSRC2:TIDIG_COMP_CNT: 1
	.section	.text._ZL18rocblas_hpr_kernelILi64ELi16ELi2EfPKPK19rocblas_complex_numIfEPKPS1_EvbiT2_T3_lllT4_lli,"axG",@progbits,_ZL18rocblas_hpr_kernelILi64ELi16ELi2EfPKPK19rocblas_complex_numIfEPKPS1_EvbiT2_T3_lllT4_lli,comdat
	.globl	_ZL18rocblas_hpr_kernelILi64ELi16ELi2EfPKPK19rocblas_complex_numIfEPKPS1_EvbiT2_T3_lllT4_lli ; -- Begin function _ZL18rocblas_hpr_kernelILi64ELi16ELi2EfPKPK19rocblas_complex_numIfEPKPS1_EvbiT2_T3_lllT4_lli
	.p2align	8
	.type	_ZL18rocblas_hpr_kernelILi64ELi16ELi2EfPKPK19rocblas_complex_numIfEPKPS1_EvbiT2_T3_lllT4_lli,@function
_ZL18rocblas_hpr_kernelILi64ELi16ELi2EfPKPK19rocblas_complex_numIfEPKPS1_EvbiT2_T3_lllT4_lli: ; @_ZL18rocblas_hpr_kernelILi64ELi16ELi2EfPKPK19rocblas_complex_numIfEPKPS1_EvbiT2_T3_lllT4_lli
; %bb.0:
	s_load_b96 s[16:18], s[0:1], 0x0
	s_wait_kmcnt 0x0
	s_cmp_eq_f32 s18, 0
	s_cbranch_scc1 .LBB5_24
; %bb.1:
	s_load_b32 s19, s[0:1], 0x48
	s_bfe_u32 s2, ttmp6, 0x40014
	s_lshr_b32 s3, ttmp7, 16
	s_add_co_i32 s2, s2, 1
	s_bfe_u32 s5, ttmp6, 0x40008
	s_mul_i32 s4, s3, s2
	s_getreg_b32 s2, hwreg(HW_REG_IB_STS2, 6, 4)
	s_add_co_i32 s5, s5, s4
	s_cmp_eq_u32 s2, 0
	s_cselect_b32 s20, s3, s5
	s_wait_kmcnt 0x0
	s_cmp_ge_u32 s20, s19
	s_cbranch_scc1 .LBB5_24
; %bb.2:
	s_bitcmp1_b32 s16, 0
	v_bfe_u32 v1, v0, 10, 10
	s_cselect_b32 vcc_lo, -1, 0
	s_bfe_u32 s3, ttmp6, 0x40010
	s_bfe_u32 s5, ttmp6, 0x4000c
	s_and_b32 s4, ttmp7, 0xffff
	s_add_co_i32 s3, s3, 1
	s_add_co_i32 s5, s5, 1
	s_mul_i32 s3, s4, s3
	s_bfe_u32 s6, ttmp6, 0x40004
	s_and_b32 s7, ttmp6, 15
	s_mul_i32 s5, ttmp9, s5
	s_xor_b32 s16, vcc_lo, -1
	s_add_co_i32 s6, s6, s3
	s_add_co_i32 s7, s7, s5
	s_cmp_eq_u32 s2, 0
	v_and_b32_e32 v0, 0x3ff, v0
	s_cselect_b32 s4, s4, s6
	s_clause 0x1
	s_load_b64 s[2:3], s[0:1], 0x20
	s_load_b128 s[8:11], s[0:1], 0x10
	v_lshl_add_u32 v8, s4, 4, v1
	s_cselect_b32 s4, ttmp9, s7
	s_lshl_b32 s5, s17, 1
	v_lshl_add_u32 v6, s4, 7, v0
	s_load_b128 s[12:15], s[0:1], 0x30
	v_sub_nc_u32_e32 v1, s5, v8
	v_mad_u32 v12, v8, v8, v8
	s_delay_alu instid0(VALU_DEP_3) | instskip(SKIP_1) | instid1(VALU_DEP_4)
	v_dual_ashrrev_i32 v9, 31, v8 :: v_dual_sub_nc_u32 v14, v6, v8
	v_add_nc_u32_e32 v10, 64, v6
	v_mad_u32 v13, v8, v1, v8
	v_ashrrev_i32_e32 v7, 31, v6
	s_wait_xcnt 0x0
	v_cmp_gt_i32_e64 s1, s17, v8
	v_cmp_lt_i32_e64 s5, v6, v8
	v_ashrrev_i32_e32 v11, 31, v10
	v_cmp_le_i32_e64 s4, v6, v8
	v_cmp_gt_i32_e64 s6, s17, v10
	v_lshrrev_b32_e32 v15, 31, v12
	s_wait_kmcnt 0x0
	v_mul_u64_e32 v[0:1], s[2:3], v[8:9]
	v_mul_u64_e32 v[2:3], s[2:3], v[6:7]
	s_and_b32 s5, s5, s1
	v_lshrrev_b32_e32 v16, 31, v13
	v_mul_u64_e32 v[4:5], s[2:3], v[10:11]
	v_add_nc_u32_e32 v7, v12, v15
	v_cmp_le_i32_e64 s3, s17, v6
	v_cmp_gt_i32_e64 s2, s17, v6
	v_add_nc_u32_e32 v9, v13, v16
	v_cmp_eq_u32_e64 s1, v6, v8
	v_ashrrev_i32_e32 v7, 1, v7
	v_cmp_lt_i32_e64 s7, v8, v10
	v_cmp_le_i32_e64 s0, s17, v8
	v_ashrrev_i32_e32 v9, 1, v9
	s_or_b32 s4, s4, s3
	v_add_nc_u32_e32 v7, v7, v6
	v_cmp_ge_i32_e64 s3, v10, v8
	s_and_b32 s7, s6, s7
	v_add_nc_u32_e32 v9, v14, v9
	s_xor_b32 s17, s5, -1
	s_and_b32 s21, s1, s2
	s_xor_b32 s22, s7, -1
	s_or_b32 s23, s0, s3
	v_dual_cndmask_b32 v6, v9, v7 :: v_dual_mov_b32 v9, 0
	v_cmp_eq_u32_e32 vcc_lo, v10, v8
	s_lshl_b64 s[0:1], s[10:11], 3
	s_lshl_b64 s[2:3], s[14:15], 3
	s_delay_alu instid0(VALU_DEP_2)
	v_ashrrev_i32_e32 v7, 31, v6
	s_and_b32 s6, vcc_lo, s6
	s_branch .LBB5_4
.LBB5_3:                                ;   in Loop: Header=BB5_4 Depth=1
	s_wait_xcnt 0x0
	s_or_b32 exec_lo, exec_lo, s11
	s_add_co_i32 s20, s20, 0x10000
	s_delay_alu instid0(SALU_CYCLE_1)
	s_cmp_lt_u32 s20, s19
	s_cbranch_scc0 .LBB5_24
.LBB5_4:                                ; =>This Inner Loop Header: Depth=1
	v_mov_b32_e32 v8, s20
	s_and_b32 vcc_lo, exec_lo, s16
	s_mov_b32 s11, 0
	s_mov_b32 s10, 0
	s_mov_b32 s14, -1
	s_clause 0x1
	global_load_b64 v[10:11], v8, s[8:9] scale_offset
	global_load_b64 v[14:15], v8, s[12:13] scale_offset
	s_cbranch_vccz .LBB5_6
; %bb.5:                                ;   in Loop: Header=BB5_4 Depth=1
	s_mov_b32 s14, 0
	s_mov_b32 s10, -1
	s_and_b32 s11, s4, exec_lo
.LBB5_6:                                ;   in Loop: Header=BB5_4 Depth=1
	s_and_not1_b32 vcc_lo, exec_lo, s14
	s_cbranch_vccnz .LBB5_8
; %bb.7:                                ;   in Loop: Header=BB5_4 Depth=1
	s_and_not1_b32 s10, s10, exec_lo
	s_and_b32 s14, s5, exec_lo
	s_and_not1_b32 s11, s11, exec_lo
	s_and_b32 s15, s17, exec_lo
	s_or_b32 s10, s10, s14
	s_or_b32 s11, s11, s15
.LBB5_8:                                ;   in Loop: Header=BB5_4 Depth=1
	s_wait_loadcnt 0x1
	v_add_nc_u64_e32 v[12:13], s[0:1], v[10:11]
	s_wait_loadcnt 0x0
	v_add_nc_u64_e32 v[10:11], s[2:3], v[14:15]
	s_wait_xcnt 0x0
	s_and_saveexec_b32 s14, s11
	s_delay_alu instid0(SALU_CYCLE_1)
	s_xor_b32 s11, exec_lo, s14
	s_cbranch_execnz .LBB5_15
; %bb.9:                                ;   in Loop: Header=BB5_4 Depth=1
	s_or_b32 exec_lo, exec_lo, s11
	v_lshl_add_u64 v[14:15], v[0:1], 3, v[12:13]
	s_and_saveexec_b32 s11, s10
	s_cbranch_execnz .LBB5_18
.LBB5_10:                               ;   in Loop: Header=BB5_4 Depth=1
	s_or_b32 exec_lo, exec_lo, s11
	s_delay_alu instid0(SALU_CYCLE_1)
	s_and_not1_b32 vcc_lo, exec_lo, s16
	s_cbranch_vccnz .LBB5_19
.LBB5_11:                               ;   in Loop: Header=BB5_4 Depth=1
	s_and_b32 s10, s7, exec_lo
	s_and_b32 s14, s22, exec_lo
	s_cbranch_execnz .LBB5_13
.LBB5_12:                               ;   in Loop: Header=BB5_4 Depth=1
	s_and_not1_b32 s11, s14, exec_lo
	s_and_b32 s14, s23, exec_lo
	s_or_b32 s10, s10, exec_lo
	s_or_b32 s14, s11, s14
.LBB5_13:                               ;   in Loop: Header=BB5_4 Depth=1
	s_delay_alu instid0(SALU_CYCLE_1)
	s_and_saveexec_b32 s11, s14
	s_cbranch_execnz .LBB5_20
; %bb.14:                               ;   in Loop: Header=BB5_4 Depth=1
	s_or_b32 exec_lo, exec_lo, s11
	s_and_saveexec_b32 s11, s10
	s_cbranch_execz .LBB5_3
	s_branch .LBB5_23
.LBB5_15:                               ;   in Loop: Header=BB5_4 Depth=1
	s_and_saveexec_b32 s14, s21
	s_cbranch_execz .LBB5_17
; %bb.16:                               ;   in Loop: Header=BB5_4 Depth=1
	v_lshl_add_u64 v[14:15], v[2:3], 3, v[12:13]
	v_lshl_add_u64 v[16:17], v[6:7], 3, v[10:11]
	flat_load_b64 v[14:15], v[14:15]
	flat_load_b32 v8, v[16:17]
	s_wait_loadcnt_dscnt 0x101
	s_wait_xcnt 0x1
	v_mul_f32_e32 v15, v15, v15
	s_delay_alu instid0(VALU_DEP_1) | instskip(SKIP_1) | instid1(VALU_DEP_1)
	v_fmac_f32_e32 v15, v14, v14
	s_wait_loadcnt_dscnt 0x0
	v_fmac_f32_e32 v8, s18, v15
	flat_store_b64 v[16:17], v[8:9]
.LBB5_17:                               ;   in Loop: Header=BB5_4 Depth=1
	s_wait_xcnt 0x0
	s_or_b32 exec_lo, exec_lo, s14
	s_delay_alu instid0(SALU_CYCLE_1)
	s_and_not1_b32 s10, s10, exec_lo
	s_or_b32 exec_lo, exec_lo, s11
	v_lshl_add_u64 v[14:15], v[0:1], 3, v[12:13]
	s_and_saveexec_b32 s11, s10
	s_cbranch_execz .LBB5_10
.LBB5_18:                               ;   in Loop: Header=BB5_4 Depth=1
	v_lshl_add_u64 v[16:17], v[2:3], 3, v[12:13]
	s_clause 0x1
	flat_load_b64 v[18:19], v[16:17]
	flat_load_b64 v[20:21], v[14:15]
	s_wait_xcnt 0x1
	v_lshl_add_u64 v[16:17], v[6:7], 3, v[10:11]
	flat_load_b64 v[22:23], v[16:17]
	s_wait_loadcnt_dscnt 0x202
	v_dual_mul_f32 v8, s18, v18 :: v_dual_mul_f32 v18, s18, v19
	s_wait_loadcnt_dscnt 0x101
	s_delay_alu instid0(VALU_DEP_1) | instskip(NEXT) | instid1(VALU_DEP_1)
	v_pk_mul_f32 v[24:25], v[8:9], v[20:21] op_sel_hi:[0,1]
	v_pk_fma_f32 v[26:27], v[18:19], v[20:21], v[24:25] op_sel:[0,1,0] op_sel_hi:[0,0,1] neg_lo:[0,0,1] neg_hi:[0,0,1]
	v_pk_fma_f32 v[18:19], v[18:19], v[20:21], v[24:25] op_sel:[0,1,0] op_sel_hi:[1,0,1]
	s_delay_alu instid0(VALU_DEP_2) | instskip(SKIP_1) | instid1(VALU_DEP_1)
	v_mov_b32_e32 v19, v27
	s_wait_loadcnt_dscnt 0x0
	v_pk_add_f32 v[18:19], v[22:23], v[18:19]
	flat_store_b64 v[16:17], v[18:19]
	s_wait_xcnt 0x0
	s_or_b32 exec_lo, exec_lo, s11
	s_delay_alu instid0(SALU_CYCLE_1)
	s_and_not1_b32 vcc_lo, exec_lo, s16
	s_cbranch_vccz .LBB5_11
.LBB5_19:                               ;   in Loop: Header=BB5_4 Depth=1
	s_mov_b32 s14, 0
	s_mov_b32 s10, 0
	s_branch .LBB5_12
.LBB5_20:                               ;   in Loop: Header=BB5_4 Depth=1
	s_and_saveexec_b32 s14, s6
	s_cbranch_execz .LBB5_22
; %bb.21:                               ;   in Loop: Header=BB5_4 Depth=1
	flat_load_b64 v[16:17], v[14:15]
	v_lshl_add_u64 v[18:19], v[6:7], 3, v[10:11]
	flat_load_b32 v8, v[18:19] offset:512
	s_wait_loadcnt_dscnt 0x101
	v_mul_f32_e32 v17, v17, v17
	s_delay_alu instid0(VALU_DEP_1) | instskip(SKIP_1) | instid1(VALU_DEP_1)
	v_fmac_f32_e32 v17, v16, v16
	s_wait_loadcnt_dscnt 0x0
	v_fmac_f32_e32 v8, s18, v17
	flat_store_b64 v[18:19], v[8:9] offset:512
.LBB5_22:                               ;   in Loop: Header=BB5_4 Depth=1
	s_wait_xcnt 0x0
	s_or_b32 exec_lo, exec_lo, s14
	s_delay_alu instid0(SALU_CYCLE_1)
	s_and_not1_b32 s10, s10, exec_lo
	s_or_b32 exec_lo, exec_lo, s11
	s_and_saveexec_b32 s11, s10
	s_cbranch_execz .LBB5_3
.LBB5_23:                               ;   in Loop: Header=BB5_4 Depth=1
	v_lshl_add_u64 v[12:13], v[4:5], 3, v[12:13]
	v_lshl_add_u64 v[10:11], v[6:7], 3, v[10:11]
	s_clause 0x1
	flat_load_b64 v[16:17], v[12:13]
	flat_load_b64 v[18:19], v[14:15]
	flat_load_b64 v[12:13], v[10:11] offset:512
	s_wait_loadcnt_dscnt 0x202
	s_wait_xcnt 0x1
	v_dual_mul_f32 v8, s18, v16 :: v_dual_mul_f32 v14, s18, v17
	s_wait_loadcnt_dscnt 0x101
	s_delay_alu instid0(VALU_DEP_1) | instskip(NEXT) | instid1(VALU_DEP_1)
	v_pk_mul_f32 v[16:17], v[8:9], v[18:19] op_sel_hi:[0,1]
	v_pk_fma_f32 v[20:21], v[14:15], v[18:19], v[16:17] op_sel:[0,1,0] op_sel_hi:[0,0,1] neg_lo:[0,0,1] neg_hi:[0,0,1]
	v_pk_fma_f32 v[14:15], v[14:15], v[18:19], v[16:17] op_sel:[0,1,0] op_sel_hi:[1,0,1]
	s_delay_alu instid0(VALU_DEP_2) | instskip(SKIP_1) | instid1(VALU_DEP_1)
	v_mov_b32_e32 v15, v21
	s_wait_loadcnt_dscnt 0x0
	v_pk_add_f32 v[12:13], v[12:13], v[14:15]
	flat_store_b64 v[10:11], v[12:13] offset:512
	s_branch .LBB5_3
.LBB5_24:
	s_endpgm
	.section	.rodata,"a",@progbits
	.p2align	6, 0x0
	.amdhsa_kernel _ZL18rocblas_hpr_kernelILi64ELi16ELi2EfPKPK19rocblas_complex_numIfEPKPS1_EvbiT2_T3_lllT4_lli
		.amdhsa_group_segment_fixed_size 0
		.amdhsa_private_segment_fixed_size 0
		.amdhsa_kernarg_size 76
		.amdhsa_user_sgpr_count 2
		.amdhsa_user_sgpr_dispatch_ptr 0
		.amdhsa_user_sgpr_queue_ptr 0
		.amdhsa_user_sgpr_kernarg_segment_ptr 1
		.amdhsa_user_sgpr_dispatch_id 0
		.amdhsa_user_sgpr_kernarg_preload_length 0
		.amdhsa_user_sgpr_kernarg_preload_offset 0
		.amdhsa_user_sgpr_private_segment_size 0
		.amdhsa_wavefront_size32 1
		.amdhsa_uses_dynamic_stack 0
		.amdhsa_enable_private_segment 0
		.amdhsa_system_sgpr_workgroup_id_x 1
		.amdhsa_system_sgpr_workgroup_id_y 1
		.amdhsa_system_sgpr_workgroup_id_z 1
		.amdhsa_system_sgpr_workgroup_info 0
		.amdhsa_system_vgpr_workitem_id 1
		.amdhsa_next_free_vgpr 28
		.amdhsa_next_free_sgpr 24
		.amdhsa_named_barrier_count 0
		.amdhsa_reserve_vcc 1
		.amdhsa_float_round_mode_32 0
		.amdhsa_float_round_mode_16_64 0
		.amdhsa_float_denorm_mode_32 3
		.amdhsa_float_denorm_mode_16_64 3
		.amdhsa_fp16_overflow 0
		.amdhsa_memory_ordered 1
		.amdhsa_forward_progress 1
		.amdhsa_inst_pref_size 10
		.amdhsa_round_robin_scheduling 0
		.amdhsa_exception_fp_ieee_invalid_op 0
		.amdhsa_exception_fp_denorm_src 0
		.amdhsa_exception_fp_ieee_div_zero 0
		.amdhsa_exception_fp_ieee_overflow 0
		.amdhsa_exception_fp_ieee_underflow 0
		.amdhsa_exception_fp_ieee_inexact 0
		.amdhsa_exception_int_div_zero 0
	.end_amdhsa_kernel
	.section	.text._ZL18rocblas_hpr_kernelILi64ELi16ELi2EfPKPK19rocblas_complex_numIfEPKPS1_EvbiT2_T3_lllT4_lli,"axG",@progbits,_ZL18rocblas_hpr_kernelILi64ELi16ELi2EfPKPK19rocblas_complex_numIfEPKPS1_EvbiT2_T3_lllT4_lli,comdat
.Lfunc_end5:
	.size	_ZL18rocblas_hpr_kernelILi64ELi16ELi2EfPKPK19rocblas_complex_numIfEPKPS1_EvbiT2_T3_lllT4_lli, .Lfunc_end5-_ZL18rocblas_hpr_kernelILi64ELi16ELi2EfPKPK19rocblas_complex_numIfEPKPS1_EvbiT2_T3_lllT4_lli
                                        ; -- End function
	.set _ZL18rocblas_hpr_kernelILi64ELi16ELi2EfPKPK19rocblas_complex_numIfEPKPS1_EvbiT2_T3_lllT4_lli.num_vgpr, 28
	.set _ZL18rocblas_hpr_kernelILi64ELi16ELi2EfPKPK19rocblas_complex_numIfEPKPS1_EvbiT2_T3_lllT4_lli.num_agpr, 0
	.set _ZL18rocblas_hpr_kernelILi64ELi16ELi2EfPKPK19rocblas_complex_numIfEPKPS1_EvbiT2_T3_lllT4_lli.numbered_sgpr, 24
	.set _ZL18rocblas_hpr_kernelILi64ELi16ELi2EfPKPK19rocblas_complex_numIfEPKPS1_EvbiT2_T3_lllT4_lli.num_named_barrier, 0
	.set _ZL18rocblas_hpr_kernelILi64ELi16ELi2EfPKPK19rocblas_complex_numIfEPKPS1_EvbiT2_T3_lllT4_lli.private_seg_size, 0
	.set _ZL18rocblas_hpr_kernelILi64ELi16ELi2EfPKPK19rocblas_complex_numIfEPKPS1_EvbiT2_T3_lllT4_lli.uses_vcc, 1
	.set _ZL18rocblas_hpr_kernelILi64ELi16ELi2EfPKPK19rocblas_complex_numIfEPKPS1_EvbiT2_T3_lllT4_lli.uses_flat_scratch, 1
	.set _ZL18rocblas_hpr_kernelILi64ELi16ELi2EfPKPK19rocblas_complex_numIfEPKPS1_EvbiT2_T3_lllT4_lli.has_dyn_sized_stack, 0
	.set _ZL18rocblas_hpr_kernelILi64ELi16ELi2EfPKPK19rocblas_complex_numIfEPKPS1_EvbiT2_T3_lllT4_lli.has_recursion, 0
	.set _ZL18rocblas_hpr_kernelILi64ELi16ELi2EfPKPK19rocblas_complex_numIfEPKPS1_EvbiT2_T3_lllT4_lli.has_indirect_call, 0
	.section	.AMDGPU.csdata,"",@progbits
; Kernel info:
; codeLenInByte = 1276
; TotalNumSgprs: 26
; NumVgprs: 28
; ScratchSize: 0
; MemoryBound: 0
; FloatMode: 240
; IeeeMode: 1
; LDSByteSize: 0 bytes/workgroup (compile time only)
; SGPRBlocks: 0
; VGPRBlocks: 1
; NumSGPRsForWavesPerEU: 26
; NumVGPRsForWavesPerEU: 28
; NamedBarCnt: 0
; Occupancy: 16
; WaveLimiterHint : 1
; COMPUTE_PGM_RSRC2:SCRATCH_EN: 0
; COMPUTE_PGM_RSRC2:USER_SGPR: 2
; COMPUTE_PGM_RSRC2:TRAP_HANDLER: 0
; COMPUTE_PGM_RSRC2:TGID_X_EN: 1
; COMPUTE_PGM_RSRC2:TGID_Y_EN: 1
; COMPUTE_PGM_RSRC2:TGID_Z_EN: 1
; COMPUTE_PGM_RSRC2:TIDIG_COMP_CNT: 1
	.section	.text._ZL18rocblas_hpr_kernelILi64ELi16ELi2EPKdPKPK19rocblas_complex_numIdEPKPS3_EvbiT2_T3_lllT4_lli,"axG",@progbits,_ZL18rocblas_hpr_kernelILi64ELi16ELi2EPKdPKPK19rocblas_complex_numIdEPKPS3_EvbiT2_T3_lllT4_lli,comdat
	.globl	_ZL18rocblas_hpr_kernelILi64ELi16ELi2EPKdPKPK19rocblas_complex_numIdEPKPS3_EvbiT2_T3_lllT4_lli ; -- Begin function _ZL18rocblas_hpr_kernelILi64ELi16ELi2EPKdPKPK19rocblas_complex_numIdEPKPS3_EvbiT2_T3_lllT4_lli
	.p2align	8
	.type	_ZL18rocblas_hpr_kernelILi64ELi16ELi2EPKdPKPK19rocblas_complex_numIdEPKPS3_EvbiT2_T3_lllT4_lli,@function
_ZL18rocblas_hpr_kernelILi64ELi16ELi2EPKdPKPK19rocblas_complex_numIdEPKPS3_EvbiT2_T3_lllT4_lli: ; @_ZL18rocblas_hpr_kernelILi64ELi16ELi2EPKdPKPK19rocblas_complex_numIdEPKPS3_EvbiT2_T3_lllT4_lli
; %bb.0:
	s_load_b256 s[8:15], s[0:1], 0x8
	s_wait_kmcnt 0x0
	s_load_b64 s[8:9], s[8:9], 0x0
	s_wait_kmcnt 0x0
	v_cmp_eq_f64_e64 s2, s[8:9], 0
	s_and_b32 vcc_lo, exec_lo, s2
	s_cbranch_vccnz .LBB6_24
; %bb.1:
	s_load_b32 s20, s[0:1], 0x48
	s_bfe_u32 s2, ttmp6, 0x40014
	s_lshr_b32 s3, ttmp7, 16
	s_add_co_i32 s2, s2, 1
	s_bfe_u32 s5, ttmp6, 0x40008
	s_mul_i32 s4, s3, s2
	s_getreg_b32 s2, hwreg(HW_REG_IB_STS2, 6, 4)
	s_add_co_i32 s5, s5, s4
	s_cmp_eq_u32 s2, 0
	s_cselect_b32 s21, s3, s5
	s_wait_kmcnt 0x0
	s_cmp_ge_u32 s21, s20
	s_cbranch_scc1 .LBB6_24
; %bb.2:
	s_clause 0x1
	s_load_b64 s[6:7], s[0:1], 0x0
	s_load_b128 s[16:19], s[0:1], 0x30
	v_bfe_u32 v1, v0, 10, 10
	v_and_b32_e32 v2, 0x3ff, v0
	s_wait_kmcnt 0x0
	s_bitcmp1_b32 s6, 0
	s_cselect_b32 vcc_lo, -1, 0
	s_bfe_u32 s1, ttmp6, 0x40010
	s_bfe_u32 s5, ttmp6, 0x4000c
	s_and_b32 s0, ttmp7, 0xffff
	s_add_co_i32 s1, s1, 1
	s_add_co_i32 s5, s5, 1
	s_bfe_u32 s3, ttmp6, 0x40004
	s_and_b32 s4, ttmp6, 15
	s_mul_i32 s1, s0, s1
	s_mul_i32 s5, ttmp9, s5
	s_xor_b32 s22, vcc_lo, -1
	s_add_co_i32 s3, s3, s1
	s_add_co_i32 s4, s4, s5
	s_cmp_eq_u32 s2, 0
	s_cselect_b32 s0, s0, s3
	s_delay_alu instid0(SALU_CYCLE_1) | instskip(SKIP_3) | instid1(VALU_DEP_2)
	v_lshl_add_u32 v0, s0, 4, v1
	s_cselect_b32 s0, ttmp9, s4
	s_lshl_b32 s1, s7, 1
	v_lshl_add_u32 v10, s0, 7, v2
	v_dual_mov_b32 v2, 0 :: v_dual_sub_nc_u32 v1, s1, v0
	v_mad_u32 v3, v0, v0, v0
	v_cmp_gt_i32_e64 s1, s7, v0
	s_delay_alu instid0(VALU_DEP_4) | instskip(NEXT) | instid1(VALU_DEP_4)
	v_dual_add_nc_u32 v12, 64, v10 :: v_dual_ashrrev_i32 v11, 31, v10
	v_mad_u32 v14, v0, v1, v0
	v_dual_ashrrev_i32 v1, 31, v0 :: v_dual_sub_nc_u32 v15, v10, v0
	s_delay_alu instid0(VALU_DEP_3) | instskip(NEXT) | instid1(VALU_DEP_4)
	v_ashrrev_i32_e32 v13, 31, v12
	v_mul_u64_e32 v[6:7], s[14:15], v[10:11]
	v_cmp_gt_i32_e64 s2, s7, v10
	s_delay_alu instid0(VALU_DEP_4) | instskip(SKIP_4) | instid1(VALU_DEP_4)
	v_mul_u64_e32 v[4:5], s[14:15], v[0:1]
	v_lshrrev_b32_e32 v1, 31, v3
	v_mul_u64_e32 v[8:9], s[14:15], v[12:13]
	v_cmp_lt_i32_e64 s5, v10, v0
	v_cmp_eq_u32_e64 s6, v10, v0
	v_dual_lshrrev_b32 v11, 31, v14 :: v_dual_add_nc_u32 v1, v3, v1
	v_cmp_le_i32_e64 s3, s7, v10
	v_cmp_le_i32_e64 s4, v10, v0
	s_and_b32 s15, s5, s1
	v_dual_add_nc_u32 v3, v14, v11 :: v_dual_ashrrev_i32 v1, 1, v1
	s_and_b32 s23, s6, s2
	v_cmp_gt_i32_e64 s1, s7, v12
	v_cmp_lt_i32_e64 s2, v0, v12
	s_delay_alu instid0(VALU_DEP_3)
	v_dual_ashrrev_i32 v3, 1, v3 :: v_dual_add_nc_u32 v1, v1, v10
	v_cmp_le_i32_e64 s0, s7, v0
	s_or_b32 s14, s4, s3
	v_cmp_ge_i32_e64 s3, v12, v0
	v_add_nc_u32_e32 v3, v15, v3
	v_cmp_eq_u32_e64 s4, v12, v0
	s_and_b32 s25, s1, s2
	s_xor_b32 s24, s15, -1
	s_or_b32 s26, s0, s3
	v_cndmask_b32_e32 v10, v3, v1, vcc_lo
	s_xor_b32 s27, s25, -1
	s_and_b32 s28, s4, s1
	s_lshl_b64 s[0:1], s[12:13], 4
	s_lshl_b64 s[2:3], s[18:19], 4
	v_ashrrev_i32_e32 v11, 31, v10
	s_branch .LBB6_4
.LBB6_3:                                ;   in Loop: Header=BB6_4 Depth=1
	s_wait_xcnt 0x0
	s_or_b32 exec_lo, exec_lo, s13
	s_add_co_i32 s21, s21, 0x10000
	s_delay_alu instid0(SALU_CYCLE_1)
	s_cmp_lt_u32 s21, s20
	s_cbranch_scc0 .LBB6_24
.LBB6_4:                                ; =>This Inner Loop Header: Depth=1
	s_mov_b32 s13, 0
	s_and_b32 vcc_lo, exec_lo, s22
	s_mov_b32 s12, 0
	s_mov_b32 s4, -1
	s_cbranch_vccz .LBB6_6
; %bb.5:                                ;   in Loop: Header=BB6_4 Depth=1
	s_mov_b32 s4, 0
	s_mov_b32 s12, -1
	s_and_b32 s13, s14, exec_lo
.LBB6_6:                                ;   in Loop: Header=BB6_4 Depth=1
	s_and_not1_b32 vcc_lo, exec_lo, s4
	s_cbranch_vccnz .LBB6_8
; %bb.7:                                ;   in Loop: Header=BB6_4 Depth=1
	s_and_not1_b32 s4, s12, exec_lo
	s_and_b32 s5, s15, exec_lo
	s_and_not1_b32 s6, s13, exec_lo
	s_and_b32 s7, s24, exec_lo
	s_or_b32 s12, s4, s5
	s_or_b32 s13, s6, s7
.LBB6_8:                                ;   in Loop: Header=BB6_4 Depth=1
	s_load_b64 s[4:5], s[10:11], s21 offset:0x0 scale_offset
	s_load_b64 s[18:19], s[16:17], s21 offset:0x0 scale_offset
	s_wait_kmcnt 0x0
	s_add_nc_u64 s[6:7], s[4:5], s[0:1]
	s_add_nc_u64 s[4:5], s[18:19], s[2:3]
	s_and_saveexec_b32 s18, s13
	s_delay_alu instid0(SALU_CYCLE_1)
	s_xor_b32 s13, exec_lo, s18
	s_cbranch_execnz .LBB6_15
; %bb.9:                                ;   in Loop: Header=BB6_4 Depth=1
	s_or_b32 exec_lo, exec_lo, s13
	v_lshl_add_u64 v[12:13], v[4:5], 4, s[6:7]
	s_and_saveexec_b32 s13, s12
	s_cbranch_execnz .LBB6_18
.LBB6_10:                               ;   in Loop: Header=BB6_4 Depth=1
	s_or_b32 exec_lo, exec_lo, s13
	s_delay_alu instid0(SALU_CYCLE_1)
	s_and_not1_b32 vcc_lo, exec_lo, s22
	s_cbranch_vccnz .LBB6_19
.LBB6_11:                               ;   in Loop: Header=BB6_4 Depth=1
	s_and_b32 s12, s25, exec_lo
	s_and_b32 s18, s27, exec_lo
	s_cbranch_execnz .LBB6_13
.LBB6_12:                               ;   in Loop: Header=BB6_4 Depth=1
	s_and_not1_b32 s13, s18, exec_lo
	s_and_b32 s18, s26, exec_lo
	s_or_b32 s12, s12, exec_lo
	s_or_b32 s18, s13, s18
.LBB6_13:                               ;   in Loop: Header=BB6_4 Depth=1
	s_delay_alu instid0(SALU_CYCLE_1)
	s_and_saveexec_b32 s13, s18
	s_cbranch_execnz .LBB6_20
; %bb.14:                               ;   in Loop: Header=BB6_4 Depth=1
	s_or_b32 exec_lo, exec_lo, s13
	s_and_saveexec_b32 s13, s12
	s_cbranch_execz .LBB6_3
	s_branch .LBB6_23
.LBB6_15:                               ;   in Loop: Header=BB6_4 Depth=1
	s_and_saveexec_b32 s18, s23
	s_cbranch_execz .LBB6_17
; %bb.16:                               ;   in Loop: Header=BB6_4 Depth=1
	v_lshl_add_u64 v[0:1], v[6:7], 4, s[6:7]
	v_lshl_add_u64 v[16:17], v[10:11], 4, s[4:5]
	v_mov_b32_e32 v3, v2
	flat_load_b128 v[12:15], v[0:1]
	flat_load_b64 v[0:1], v[16:17]
	s_wait_loadcnt_dscnt 0x101
	v_mul_f64_e32 v[14:15], v[14:15], v[14:15]
	s_delay_alu instid0(VALU_DEP_1) | instskip(SKIP_1) | instid1(VALU_DEP_1)
	v_fmac_f64_e32 v[14:15], v[12:13], v[12:13]
	s_wait_loadcnt_dscnt 0x0
	v_fmac_f64_e32 v[0:1], s[8:9], v[14:15]
	flat_store_b128 v[16:17], v[0:3]
.LBB6_17:                               ;   in Loop: Header=BB6_4 Depth=1
	s_wait_xcnt 0x0
	s_or_b32 exec_lo, exec_lo, s18
	s_delay_alu instid0(SALU_CYCLE_1)
	s_and_not1_b32 s12, s12, exec_lo
	s_or_b32 exec_lo, exec_lo, s13
	v_lshl_add_u64 v[12:13], v[4:5], 4, s[6:7]
	s_and_saveexec_b32 s13, s12
	s_cbranch_execz .LBB6_10
.LBB6_18:                               ;   in Loop: Header=BB6_4 Depth=1
	v_lshl_add_u64 v[0:1], v[6:7], 4, s[6:7]
	s_clause 0x1
	flat_load_b128 v[14:17], v[0:1]
	flat_load_b128 v[18:21], v[12:13]
	s_wait_xcnt 0x1
	v_lshl_add_u64 v[0:1], v[10:11], 4, s[4:5]
	flat_load_b128 v[22:25], v[0:1]
	s_wait_loadcnt_dscnt 0x202
	v_mul_f64_e32 v[16:17], s[8:9], v[16:17]
	v_mul_f64_e32 v[14:15], s[8:9], v[14:15]
	s_wait_loadcnt_dscnt 0x101
	s_delay_alu instid0(VALU_DEP_2) | instskip(NEXT) | instid1(VALU_DEP_2)
	v_mul_f64_e32 v[26:27], v[16:17], v[20:21]
	v_mul_f64_e32 v[20:21], v[14:15], v[20:21]
	s_delay_alu instid0(VALU_DEP_2) | instskip(NEXT) | instid1(VALU_DEP_2)
	v_fmac_f64_e32 v[26:27], v[14:15], v[18:19]
	v_fma_f64 v[16:17], v[18:19], v[16:17], -v[20:21]
	s_wait_loadcnt_dscnt 0x0
	s_delay_alu instid0(VALU_DEP_2) | instskip(NEXT) | instid1(VALU_DEP_2)
	v_add_f64_e32 v[14:15], v[22:23], v[26:27]
	v_add_f64_e32 v[16:17], v[16:17], v[24:25]
	flat_store_b128 v[0:1], v[14:17]
	s_wait_xcnt 0x0
	s_or_b32 exec_lo, exec_lo, s13
	s_delay_alu instid0(SALU_CYCLE_1)
	s_and_not1_b32 vcc_lo, exec_lo, s22
	s_cbranch_vccz .LBB6_11
.LBB6_19:                               ;   in Loop: Header=BB6_4 Depth=1
	s_mov_b32 s18, 0
	s_mov_b32 s12, 0
	s_branch .LBB6_12
.LBB6_20:                               ;   in Loop: Header=BB6_4 Depth=1
	s_and_saveexec_b32 s18, s28
	s_cbranch_execz .LBB6_22
; %bb.21:                               ;   in Loop: Header=BB6_4 Depth=1
	flat_load_b128 v[14:17], v[12:13]
	v_lshl_add_u64 v[18:19], v[10:11], 4, s[4:5]
	v_mov_b32_e32 v3, v2
	flat_load_b64 v[0:1], v[18:19] offset:1024
	s_wait_loadcnt_dscnt 0x101
	v_mul_f64_e32 v[16:17], v[16:17], v[16:17]
	s_delay_alu instid0(VALU_DEP_1) | instskip(SKIP_1) | instid1(VALU_DEP_1)
	v_fmac_f64_e32 v[16:17], v[14:15], v[14:15]
	s_wait_loadcnt_dscnt 0x0
	v_fmac_f64_e32 v[0:1], s[8:9], v[16:17]
	flat_store_b128 v[18:19], v[0:3] offset:1024
.LBB6_22:                               ;   in Loop: Header=BB6_4 Depth=1
	s_wait_xcnt 0x0
	s_or_b32 exec_lo, exec_lo, s18
	s_delay_alu instid0(SALU_CYCLE_1)
	s_and_not1_b32 s12, s12, exec_lo
	s_or_b32 exec_lo, exec_lo, s13
	s_and_saveexec_b32 s13, s12
	s_cbranch_execz .LBB6_3
.LBB6_23:                               ;   in Loop: Header=BB6_4 Depth=1
	v_lshl_add_u64 v[0:1], v[8:9], 4, s[6:7]
	s_clause 0x1
	flat_load_b128 v[14:17], v[0:1]
	flat_load_b128 v[18:21], v[12:13]
	s_wait_xcnt 0x1
	v_lshl_add_u64 v[0:1], v[10:11], 4, s[4:5]
	flat_load_b128 v[22:25], v[0:1] offset:1024
	s_wait_loadcnt_dscnt 0x202
	s_wait_xcnt 0x1
	v_mul_f64_e32 v[12:13], s[8:9], v[16:17]
	v_mul_f64_e32 v[14:15], s[8:9], v[14:15]
	s_wait_loadcnt_dscnt 0x101
	s_delay_alu instid0(VALU_DEP_2) | instskip(NEXT) | instid1(VALU_DEP_2)
	v_mul_f64_e32 v[16:17], v[12:13], v[20:21]
	v_mul_f64_e32 v[20:21], v[14:15], v[20:21]
	s_delay_alu instid0(VALU_DEP_2) | instskip(NEXT) | instid1(VALU_DEP_2)
	v_fmac_f64_e32 v[16:17], v[14:15], v[18:19]
	v_fma_f64 v[14:15], v[18:19], v[12:13], -v[20:21]
	s_wait_loadcnt_dscnt 0x0
	s_delay_alu instid0(VALU_DEP_2) | instskip(NEXT) | instid1(VALU_DEP_2)
	v_add_f64_e32 v[12:13], v[22:23], v[16:17]
	v_add_f64_e32 v[14:15], v[14:15], v[24:25]
	flat_store_b128 v[0:1], v[12:15] offset:1024
	s_branch .LBB6_3
.LBB6_24:
	s_endpgm
	.section	.rodata,"a",@progbits
	.p2align	6, 0x0
	.amdhsa_kernel _ZL18rocblas_hpr_kernelILi64ELi16ELi2EPKdPKPK19rocblas_complex_numIdEPKPS3_EvbiT2_T3_lllT4_lli
		.amdhsa_group_segment_fixed_size 0
		.amdhsa_private_segment_fixed_size 0
		.amdhsa_kernarg_size 76
		.amdhsa_user_sgpr_count 2
		.amdhsa_user_sgpr_dispatch_ptr 0
		.amdhsa_user_sgpr_queue_ptr 0
		.amdhsa_user_sgpr_kernarg_segment_ptr 1
		.amdhsa_user_sgpr_dispatch_id 0
		.amdhsa_user_sgpr_kernarg_preload_length 0
		.amdhsa_user_sgpr_kernarg_preload_offset 0
		.amdhsa_user_sgpr_private_segment_size 0
		.amdhsa_wavefront_size32 1
		.amdhsa_uses_dynamic_stack 0
		.amdhsa_enable_private_segment 0
		.amdhsa_system_sgpr_workgroup_id_x 1
		.amdhsa_system_sgpr_workgroup_id_y 1
		.amdhsa_system_sgpr_workgroup_id_z 1
		.amdhsa_system_sgpr_workgroup_info 0
		.amdhsa_system_vgpr_workitem_id 1
		.amdhsa_next_free_vgpr 28
		.amdhsa_next_free_sgpr 29
		.amdhsa_named_barrier_count 0
		.amdhsa_reserve_vcc 1
		.amdhsa_float_round_mode_32 0
		.amdhsa_float_round_mode_16_64 0
		.amdhsa_float_denorm_mode_32 3
		.amdhsa_float_denorm_mode_16_64 3
		.amdhsa_fp16_overflow 0
		.amdhsa_memory_ordered 1
		.amdhsa_forward_progress 1
		.amdhsa_inst_pref_size 11
		.amdhsa_round_robin_scheduling 0
		.amdhsa_exception_fp_ieee_invalid_op 0
		.amdhsa_exception_fp_denorm_src 0
		.amdhsa_exception_fp_ieee_div_zero 0
		.amdhsa_exception_fp_ieee_overflow 0
		.amdhsa_exception_fp_ieee_underflow 0
		.amdhsa_exception_fp_ieee_inexact 0
		.amdhsa_exception_int_div_zero 0
	.end_amdhsa_kernel
	.section	.text._ZL18rocblas_hpr_kernelILi64ELi16ELi2EPKdPKPK19rocblas_complex_numIdEPKPS3_EvbiT2_T3_lllT4_lli,"axG",@progbits,_ZL18rocblas_hpr_kernelILi64ELi16ELi2EPKdPKPK19rocblas_complex_numIdEPKPS3_EvbiT2_T3_lllT4_lli,comdat
.Lfunc_end6:
	.size	_ZL18rocblas_hpr_kernelILi64ELi16ELi2EPKdPKPK19rocblas_complex_numIdEPKPS3_EvbiT2_T3_lllT4_lli, .Lfunc_end6-_ZL18rocblas_hpr_kernelILi64ELi16ELi2EPKdPKPK19rocblas_complex_numIdEPKPS3_EvbiT2_T3_lllT4_lli
                                        ; -- End function
	.set _ZL18rocblas_hpr_kernelILi64ELi16ELi2EPKdPKPK19rocblas_complex_numIdEPKPS3_EvbiT2_T3_lllT4_lli.num_vgpr, 28
	.set _ZL18rocblas_hpr_kernelILi64ELi16ELi2EPKdPKPK19rocblas_complex_numIdEPKPS3_EvbiT2_T3_lllT4_lli.num_agpr, 0
	.set _ZL18rocblas_hpr_kernelILi64ELi16ELi2EPKdPKPK19rocblas_complex_numIdEPKPS3_EvbiT2_T3_lllT4_lli.numbered_sgpr, 29
	.set _ZL18rocblas_hpr_kernelILi64ELi16ELi2EPKdPKPK19rocblas_complex_numIdEPKPS3_EvbiT2_T3_lllT4_lli.num_named_barrier, 0
	.set _ZL18rocblas_hpr_kernelILi64ELi16ELi2EPKdPKPK19rocblas_complex_numIdEPKPS3_EvbiT2_T3_lllT4_lli.private_seg_size, 0
	.set _ZL18rocblas_hpr_kernelILi64ELi16ELi2EPKdPKPK19rocblas_complex_numIdEPKPS3_EvbiT2_T3_lllT4_lli.uses_vcc, 1
	.set _ZL18rocblas_hpr_kernelILi64ELi16ELi2EPKdPKPK19rocblas_complex_numIdEPKPS3_EvbiT2_T3_lllT4_lli.uses_flat_scratch, 1
	.set _ZL18rocblas_hpr_kernelILi64ELi16ELi2EPKdPKPK19rocblas_complex_numIdEPKPS3_EvbiT2_T3_lllT4_lli.has_dyn_sized_stack, 0
	.set _ZL18rocblas_hpr_kernelILi64ELi16ELi2EPKdPKPK19rocblas_complex_numIdEPKPS3_EvbiT2_T3_lllT4_lli.has_recursion, 0
	.set _ZL18rocblas_hpr_kernelILi64ELi16ELi2EPKdPKPK19rocblas_complex_numIdEPKPS3_EvbiT2_T3_lllT4_lli.has_indirect_call, 0
	.section	.AMDGPU.csdata,"",@progbits
; Kernel info:
; codeLenInByte = 1284
; TotalNumSgprs: 31
; NumVgprs: 28
; ScratchSize: 0
; MemoryBound: 0
; FloatMode: 240
; IeeeMode: 1
; LDSByteSize: 0 bytes/workgroup (compile time only)
; SGPRBlocks: 0
; VGPRBlocks: 1
; NumSGPRsForWavesPerEU: 31
; NumVGPRsForWavesPerEU: 28
; NamedBarCnt: 0
; Occupancy: 16
; WaveLimiterHint : 1
; COMPUTE_PGM_RSRC2:SCRATCH_EN: 0
; COMPUTE_PGM_RSRC2:USER_SGPR: 2
; COMPUTE_PGM_RSRC2:TRAP_HANDLER: 0
; COMPUTE_PGM_RSRC2:TGID_X_EN: 1
; COMPUTE_PGM_RSRC2:TGID_Y_EN: 1
; COMPUTE_PGM_RSRC2:TGID_Z_EN: 1
; COMPUTE_PGM_RSRC2:TIDIG_COMP_CNT: 1
	.section	.text._ZL18rocblas_hpr_kernelILi64ELi16ELi2EdPKPK19rocblas_complex_numIdEPKPS1_EvbiT2_T3_lllT4_lli,"axG",@progbits,_ZL18rocblas_hpr_kernelILi64ELi16ELi2EdPKPK19rocblas_complex_numIdEPKPS1_EvbiT2_T3_lllT4_lli,comdat
	.globl	_ZL18rocblas_hpr_kernelILi64ELi16ELi2EdPKPK19rocblas_complex_numIdEPKPS1_EvbiT2_T3_lllT4_lli ; -- Begin function _ZL18rocblas_hpr_kernelILi64ELi16ELi2EdPKPK19rocblas_complex_numIdEPKPS1_EvbiT2_T3_lllT4_lli
	.p2align	8
	.type	_ZL18rocblas_hpr_kernelILi64ELi16ELi2EdPKPK19rocblas_complex_numIdEPKPS1_EvbiT2_T3_lllT4_lli,@function
_ZL18rocblas_hpr_kernelILi64ELi16ELi2EdPKPK19rocblas_complex_numIdEPKPS1_EvbiT2_T3_lllT4_lli: ; @_ZL18rocblas_hpr_kernelILi64ELi16ELi2EdPKPK19rocblas_complex_numIdEPKPS1_EvbiT2_T3_lllT4_lli
; %bb.0:
	s_load_b256 s[8:15], s[0:1], 0x8
	s_wait_kmcnt 0x0
	v_cmp_eq_f64_e64 s2, s[8:9], 0
	s_and_b32 vcc_lo, exec_lo, s2
	s_cbranch_vccnz .LBB7_24
; %bb.1:
	s_load_b32 s20, s[0:1], 0x48
	s_bfe_u32 s2, ttmp6, 0x40014
	s_lshr_b32 s3, ttmp7, 16
	s_add_co_i32 s2, s2, 1
	s_bfe_u32 s5, ttmp6, 0x40008
	s_mul_i32 s4, s3, s2
	s_getreg_b32 s2, hwreg(HW_REG_IB_STS2, 6, 4)
	s_add_co_i32 s5, s5, s4
	s_cmp_eq_u32 s2, 0
	s_cselect_b32 s21, s3, s5
	s_wait_kmcnt 0x0
	s_cmp_ge_u32 s21, s20
	s_cbranch_scc1 .LBB7_24
; %bb.2:
	s_clause 0x1
	s_load_b64 s[6:7], s[0:1], 0x0
	s_load_b128 s[16:19], s[0:1], 0x30
	v_bfe_u32 v1, v0, 10, 10
	v_and_b32_e32 v2, 0x3ff, v0
	s_wait_kmcnt 0x0
	s_bitcmp1_b32 s6, 0
	s_cselect_b32 vcc_lo, -1, 0
	s_bfe_u32 s1, ttmp6, 0x40010
	s_bfe_u32 s5, ttmp6, 0x4000c
	s_and_b32 s0, ttmp7, 0xffff
	s_add_co_i32 s1, s1, 1
	s_add_co_i32 s5, s5, 1
	s_bfe_u32 s3, ttmp6, 0x40004
	s_and_b32 s4, ttmp6, 15
	s_mul_i32 s1, s0, s1
	s_mul_i32 s5, ttmp9, s5
	s_xor_b32 s22, vcc_lo, -1
	s_add_co_i32 s3, s3, s1
	s_add_co_i32 s4, s4, s5
	s_cmp_eq_u32 s2, 0
	s_cselect_b32 s0, s0, s3
	s_delay_alu instid0(SALU_CYCLE_1) | instskip(SKIP_3) | instid1(VALU_DEP_2)
	v_lshl_add_u32 v0, s0, 4, v1
	s_cselect_b32 s0, ttmp9, s4
	s_lshl_b32 s1, s7, 1
	v_lshl_add_u32 v10, s0, 7, v2
	v_dual_mov_b32 v2, 0 :: v_dual_sub_nc_u32 v1, s1, v0
	v_mad_u32 v3, v0, v0, v0
	v_cmp_gt_i32_e64 s1, s7, v0
	s_delay_alu instid0(VALU_DEP_4) | instskip(NEXT) | instid1(VALU_DEP_4)
	v_dual_add_nc_u32 v12, 64, v10 :: v_dual_ashrrev_i32 v11, 31, v10
	v_mad_u32 v14, v0, v1, v0
	v_dual_ashrrev_i32 v1, 31, v0 :: v_dual_sub_nc_u32 v15, v10, v0
	s_delay_alu instid0(VALU_DEP_3) | instskip(NEXT) | instid1(VALU_DEP_4)
	v_ashrrev_i32_e32 v13, 31, v12
	v_mul_u64_e32 v[6:7], s[14:15], v[10:11]
	v_cmp_gt_i32_e64 s2, s7, v10
	s_delay_alu instid0(VALU_DEP_4) | instskip(SKIP_4) | instid1(VALU_DEP_4)
	v_mul_u64_e32 v[4:5], s[14:15], v[0:1]
	v_lshrrev_b32_e32 v1, 31, v3
	v_mul_u64_e32 v[8:9], s[14:15], v[12:13]
	v_cmp_lt_i32_e64 s5, v10, v0
	v_cmp_eq_u32_e64 s6, v10, v0
	v_dual_lshrrev_b32 v11, 31, v14 :: v_dual_add_nc_u32 v1, v3, v1
	v_cmp_le_i32_e64 s3, s7, v10
	v_cmp_le_i32_e64 s4, v10, v0
	s_and_b32 s15, s5, s1
	v_dual_add_nc_u32 v3, v14, v11 :: v_dual_ashrrev_i32 v1, 1, v1
	s_and_b32 s23, s6, s2
	v_cmp_gt_i32_e64 s1, s7, v12
	v_cmp_lt_i32_e64 s2, v0, v12
	s_delay_alu instid0(VALU_DEP_3)
	v_dual_ashrrev_i32 v3, 1, v3 :: v_dual_add_nc_u32 v1, v1, v10
	v_cmp_le_i32_e64 s0, s7, v0
	s_or_b32 s14, s4, s3
	v_cmp_ge_i32_e64 s3, v12, v0
	v_add_nc_u32_e32 v3, v15, v3
	v_cmp_eq_u32_e64 s4, v12, v0
	s_and_b32 s25, s1, s2
	s_xor_b32 s24, s15, -1
	s_or_b32 s26, s0, s3
	v_cndmask_b32_e32 v10, v3, v1, vcc_lo
	s_xor_b32 s27, s25, -1
	s_and_b32 s28, s4, s1
	s_lshl_b64 s[0:1], s[12:13], 4
	s_lshl_b64 s[2:3], s[18:19], 4
	v_ashrrev_i32_e32 v11, 31, v10
	s_branch .LBB7_4
.LBB7_3:                                ;   in Loop: Header=BB7_4 Depth=1
	s_wait_xcnt 0x0
	s_or_b32 exec_lo, exec_lo, s13
	s_add_co_i32 s21, s21, 0x10000
	s_delay_alu instid0(SALU_CYCLE_1)
	s_cmp_lt_u32 s21, s20
	s_cbranch_scc0 .LBB7_24
.LBB7_4:                                ; =>This Inner Loop Header: Depth=1
	s_mov_b32 s13, 0
	s_and_b32 vcc_lo, exec_lo, s22
	s_mov_b32 s12, 0
	s_mov_b32 s4, -1
	s_cbranch_vccz .LBB7_6
; %bb.5:                                ;   in Loop: Header=BB7_4 Depth=1
	s_mov_b32 s4, 0
	s_mov_b32 s12, -1
	s_and_b32 s13, s14, exec_lo
.LBB7_6:                                ;   in Loop: Header=BB7_4 Depth=1
	s_and_not1_b32 vcc_lo, exec_lo, s4
	s_cbranch_vccnz .LBB7_8
; %bb.7:                                ;   in Loop: Header=BB7_4 Depth=1
	s_and_not1_b32 s4, s12, exec_lo
	s_and_b32 s5, s15, exec_lo
	s_and_not1_b32 s6, s13, exec_lo
	s_and_b32 s7, s24, exec_lo
	s_or_b32 s12, s4, s5
	s_or_b32 s13, s6, s7
.LBB7_8:                                ;   in Loop: Header=BB7_4 Depth=1
	s_load_b64 s[4:5], s[10:11], s21 offset:0x0 scale_offset
	s_load_b64 s[18:19], s[16:17], s21 offset:0x0 scale_offset
	s_wait_kmcnt 0x0
	s_add_nc_u64 s[6:7], s[4:5], s[0:1]
	s_add_nc_u64 s[4:5], s[18:19], s[2:3]
	s_and_saveexec_b32 s18, s13
	s_delay_alu instid0(SALU_CYCLE_1)
	s_xor_b32 s13, exec_lo, s18
	s_cbranch_execnz .LBB7_15
; %bb.9:                                ;   in Loop: Header=BB7_4 Depth=1
	s_or_b32 exec_lo, exec_lo, s13
	v_lshl_add_u64 v[12:13], v[4:5], 4, s[6:7]
	s_and_saveexec_b32 s13, s12
	s_cbranch_execnz .LBB7_18
.LBB7_10:                               ;   in Loop: Header=BB7_4 Depth=1
	s_or_b32 exec_lo, exec_lo, s13
	s_delay_alu instid0(SALU_CYCLE_1)
	s_and_not1_b32 vcc_lo, exec_lo, s22
	s_cbranch_vccnz .LBB7_19
.LBB7_11:                               ;   in Loop: Header=BB7_4 Depth=1
	s_and_b32 s12, s25, exec_lo
	s_and_b32 s18, s27, exec_lo
	s_cbranch_execnz .LBB7_13
.LBB7_12:                               ;   in Loop: Header=BB7_4 Depth=1
	s_and_not1_b32 s13, s18, exec_lo
	s_and_b32 s18, s26, exec_lo
	s_or_b32 s12, s12, exec_lo
	s_or_b32 s18, s13, s18
.LBB7_13:                               ;   in Loop: Header=BB7_4 Depth=1
	s_delay_alu instid0(SALU_CYCLE_1)
	s_and_saveexec_b32 s13, s18
	s_cbranch_execnz .LBB7_20
; %bb.14:                               ;   in Loop: Header=BB7_4 Depth=1
	s_or_b32 exec_lo, exec_lo, s13
	s_and_saveexec_b32 s13, s12
	s_cbranch_execz .LBB7_3
	s_branch .LBB7_23
.LBB7_15:                               ;   in Loop: Header=BB7_4 Depth=1
	s_and_saveexec_b32 s18, s23
	s_cbranch_execz .LBB7_17
; %bb.16:                               ;   in Loop: Header=BB7_4 Depth=1
	v_lshl_add_u64 v[0:1], v[6:7], 4, s[6:7]
	v_lshl_add_u64 v[16:17], v[10:11], 4, s[4:5]
	v_mov_b32_e32 v3, v2
	flat_load_b128 v[12:15], v[0:1]
	flat_load_b64 v[0:1], v[16:17]
	s_wait_loadcnt_dscnt 0x101
	v_mul_f64_e32 v[14:15], v[14:15], v[14:15]
	s_delay_alu instid0(VALU_DEP_1) | instskip(SKIP_1) | instid1(VALU_DEP_1)
	v_fmac_f64_e32 v[14:15], v[12:13], v[12:13]
	s_wait_loadcnt_dscnt 0x0
	v_fmac_f64_e32 v[0:1], s[8:9], v[14:15]
	flat_store_b128 v[16:17], v[0:3]
.LBB7_17:                               ;   in Loop: Header=BB7_4 Depth=1
	s_wait_xcnt 0x0
	s_or_b32 exec_lo, exec_lo, s18
	s_delay_alu instid0(SALU_CYCLE_1)
	s_and_not1_b32 s12, s12, exec_lo
	s_or_b32 exec_lo, exec_lo, s13
	v_lshl_add_u64 v[12:13], v[4:5], 4, s[6:7]
	s_and_saveexec_b32 s13, s12
	s_cbranch_execz .LBB7_10
.LBB7_18:                               ;   in Loop: Header=BB7_4 Depth=1
	v_lshl_add_u64 v[0:1], v[6:7], 4, s[6:7]
	s_clause 0x1
	flat_load_b128 v[14:17], v[0:1]
	flat_load_b128 v[18:21], v[12:13]
	s_wait_xcnt 0x1
	v_lshl_add_u64 v[0:1], v[10:11], 4, s[4:5]
	flat_load_b128 v[22:25], v[0:1]
	s_wait_loadcnt_dscnt 0x202
	v_mul_f64_e32 v[16:17], s[8:9], v[16:17]
	v_mul_f64_e32 v[14:15], s[8:9], v[14:15]
	s_wait_loadcnt_dscnt 0x101
	s_delay_alu instid0(VALU_DEP_2) | instskip(NEXT) | instid1(VALU_DEP_2)
	v_mul_f64_e32 v[26:27], v[16:17], v[20:21]
	v_mul_f64_e32 v[20:21], v[14:15], v[20:21]
	s_delay_alu instid0(VALU_DEP_2) | instskip(NEXT) | instid1(VALU_DEP_2)
	v_fmac_f64_e32 v[26:27], v[14:15], v[18:19]
	v_fma_f64 v[16:17], v[18:19], v[16:17], -v[20:21]
	s_wait_loadcnt_dscnt 0x0
	s_delay_alu instid0(VALU_DEP_2) | instskip(NEXT) | instid1(VALU_DEP_2)
	v_add_f64_e32 v[14:15], v[22:23], v[26:27]
	v_add_f64_e32 v[16:17], v[16:17], v[24:25]
	flat_store_b128 v[0:1], v[14:17]
	s_wait_xcnt 0x0
	s_or_b32 exec_lo, exec_lo, s13
	s_delay_alu instid0(SALU_CYCLE_1)
	s_and_not1_b32 vcc_lo, exec_lo, s22
	s_cbranch_vccz .LBB7_11
.LBB7_19:                               ;   in Loop: Header=BB7_4 Depth=1
	s_mov_b32 s18, 0
	s_mov_b32 s12, 0
	s_branch .LBB7_12
.LBB7_20:                               ;   in Loop: Header=BB7_4 Depth=1
	s_and_saveexec_b32 s18, s28
	s_cbranch_execz .LBB7_22
; %bb.21:                               ;   in Loop: Header=BB7_4 Depth=1
	flat_load_b128 v[14:17], v[12:13]
	v_lshl_add_u64 v[18:19], v[10:11], 4, s[4:5]
	v_mov_b32_e32 v3, v2
	flat_load_b64 v[0:1], v[18:19] offset:1024
	s_wait_loadcnt_dscnt 0x101
	v_mul_f64_e32 v[16:17], v[16:17], v[16:17]
	s_delay_alu instid0(VALU_DEP_1) | instskip(SKIP_1) | instid1(VALU_DEP_1)
	v_fmac_f64_e32 v[16:17], v[14:15], v[14:15]
	s_wait_loadcnt_dscnt 0x0
	v_fmac_f64_e32 v[0:1], s[8:9], v[16:17]
	flat_store_b128 v[18:19], v[0:3] offset:1024
.LBB7_22:                               ;   in Loop: Header=BB7_4 Depth=1
	s_wait_xcnt 0x0
	s_or_b32 exec_lo, exec_lo, s18
	s_delay_alu instid0(SALU_CYCLE_1)
	s_and_not1_b32 s12, s12, exec_lo
	s_or_b32 exec_lo, exec_lo, s13
	s_and_saveexec_b32 s13, s12
	s_cbranch_execz .LBB7_3
.LBB7_23:                               ;   in Loop: Header=BB7_4 Depth=1
	v_lshl_add_u64 v[0:1], v[8:9], 4, s[6:7]
	s_clause 0x1
	flat_load_b128 v[14:17], v[0:1]
	flat_load_b128 v[18:21], v[12:13]
	s_wait_xcnt 0x1
	v_lshl_add_u64 v[0:1], v[10:11], 4, s[4:5]
	flat_load_b128 v[22:25], v[0:1] offset:1024
	s_wait_loadcnt_dscnt 0x202
	s_wait_xcnt 0x1
	v_mul_f64_e32 v[12:13], s[8:9], v[16:17]
	v_mul_f64_e32 v[14:15], s[8:9], v[14:15]
	s_wait_loadcnt_dscnt 0x101
	s_delay_alu instid0(VALU_DEP_2) | instskip(NEXT) | instid1(VALU_DEP_2)
	v_mul_f64_e32 v[16:17], v[12:13], v[20:21]
	v_mul_f64_e32 v[20:21], v[14:15], v[20:21]
	s_delay_alu instid0(VALU_DEP_2) | instskip(NEXT) | instid1(VALU_DEP_2)
	v_fmac_f64_e32 v[16:17], v[14:15], v[18:19]
	v_fma_f64 v[14:15], v[18:19], v[12:13], -v[20:21]
	s_wait_loadcnt_dscnt 0x0
	s_delay_alu instid0(VALU_DEP_2) | instskip(NEXT) | instid1(VALU_DEP_2)
	v_add_f64_e32 v[12:13], v[22:23], v[16:17]
	v_add_f64_e32 v[14:15], v[14:15], v[24:25]
	flat_store_b128 v[0:1], v[12:15] offset:1024
	s_branch .LBB7_3
.LBB7_24:
	s_endpgm
	.section	.rodata,"a",@progbits
	.p2align	6, 0x0
	.amdhsa_kernel _ZL18rocblas_hpr_kernelILi64ELi16ELi2EdPKPK19rocblas_complex_numIdEPKPS1_EvbiT2_T3_lllT4_lli
		.amdhsa_group_segment_fixed_size 0
		.amdhsa_private_segment_fixed_size 0
		.amdhsa_kernarg_size 76
		.amdhsa_user_sgpr_count 2
		.amdhsa_user_sgpr_dispatch_ptr 0
		.amdhsa_user_sgpr_queue_ptr 0
		.amdhsa_user_sgpr_kernarg_segment_ptr 1
		.amdhsa_user_sgpr_dispatch_id 0
		.amdhsa_user_sgpr_kernarg_preload_length 0
		.amdhsa_user_sgpr_kernarg_preload_offset 0
		.amdhsa_user_sgpr_private_segment_size 0
		.amdhsa_wavefront_size32 1
		.amdhsa_uses_dynamic_stack 0
		.amdhsa_enable_private_segment 0
		.amdhsa_system_sgpr_workgroup_id_x 1
		.amdhsa_system_sgpr_workgroup_id_y 1
		.amdhsa_system_sgpr_workgroup_id_z 1
		.amdhsa_system_sgpr_workgroup_info 0
		.amdhsa_system_vgpr_workitem_id 1
		.amdhsa_next_free_vgpr 28
		.amdhsa_next_free_sgpr 29
		.amdhsa_named_barrier_count 0
		.amdhsa_reserve_vcc 1
		.amdhsa_float_round_mode_32 0
		.amdhsa_float_round_mode_16_64 0
		.amdhsa_float_denorm_mode_32 3
		.amdhsa_float_denorm_mode_16_64 3
		.amdhsa_fp16_overflow 0
		.amdhsa_memory_ordered 1
		.amdhsa_forward_progress 1
		.amdhsa_inst_pref_size 10
		.amdhsa_round_robin_scheduling 0
		.amdhsa_exception_fp_ieee_invalid_op 0
		.amdhsa_exception_fp_denorm_src 0
		.amdhsa_exception_fp_ieee_div_zero 0
		.amdhsa_exception_fp_ieee_overflow 0
		.amdhsa_exception_fp_ieee_underflow 0
		.amdhsa_exception_fp_ieee_inexact 0
		.amdhsa_exception_int_div_zero 0
	.end_amdhsa_kernel
	.section	.text._ZL18rocblas_hpr_kernelILi64ELi16ELi2EdPKPK19rocblas_complex_numIdEPKPS1_EvbiT2_T3_lllT4_lli,"axG",@progbits,_ZL18rocblas_hpr_kernelILi64ELi16ELi2EdPKPK19rocblas_complex_numIdEPKPS1_EvbiT2_T3_lllT4_lli,comdat
.Lfunc_end7:
	.size	_ZL18rocblas_hpr_kernelILi64ELi16ELi2EdPKPK19rocblas_complex_numIdEPKPS1_EvbiT2_T3_lllT4_lli, .Lfunc_end7-_ZL18rocblas_hpr_kernelILi64ELi16ELi2EdPKPK19rocblas_complex_numIdEPKPS1_EvbiT2_T3_lllT4_lli
                                        ; -- End function
	.set _ZL18rocblas_hpr_kernelILi64ELi16ELi2EdPKPK19rocblas_complex_numIdEPKPS1_EvbiT2_T3_lllT4_lli.num_vgpr, 28
	.set _ZL18rocblas_hpr_kernelILi64ELi16ELi2EdPKPK19rocblas_complex_numIdEPKPS1_EvbiT2_T3_lllT4_lli.num_agpr, 0
	.set _ZL18rocblas_hpr_kernelILi64ELi16ELi2EdPKPK19rocblas_complex_numIdEPKPS1_EvbiT2_T3_lllT4_lli.numbered_sgpr, 29
	.set _ZL18rocblas_hpr_kernelILi64ELi16ELi2EdPKPK19rocblas_complex_numIdEPKPS1_EvbiT2_T3_lllT4_lli.num_named_barrier, 0
	.set _ZL18rocblas_hpr_kernelILi64ELi16ELi2EdPKPK19rocblas_complex_numIdEPKPS1_EvbiT2_T3_lllT4_lli.private_seg_size, 0
	.set _ZL18rocblas_hpr_kernelILi64ELi16ELi2EdPKPK19rocblas_complex_numIdEPKPS1_EvbiT2_T3_lllT4_lli.uses_vcc, 1
	.set _ZL18rocblas_hpr_kernelILi64ELi16ELi2EdPKPK19rocblas_complex_numIdEPKPS1_EvbiT2_T3_lllT4_lli.uses_flat_scratch, 1
	.set _ZL18rocblas_hpr_kernelILi64ELi16ELi2EdPKPK19rocblas_complex_numIdEPKPS1_EvbiT2_T3_lllT4_lli.has_dyn_sized_stack, 0
	.set _ZL18rocblas_hpr_kernelILi64ELi16ELi2EdPKPK19rocblas_complex_numIdEPKPS1_EvbiT2_T3_lllT4_lli.has_recursion, 0
	.set _ZL18rocblas_hpr_kernelILi64ELi16ELi2EdPKPK19rocblas_complex_numIdEPKPS1_EvbiT2_T3_lllT4_lli.has_indirect_call, 0
	.section	.AMDGPU.csdata,"",@progbits
; Kernel info:
; codeLenInByte = 1272
; TotalNumSgprs: 31
; NumVgprs: 28
; ScratchSize: 0
; MemoryBound: 0
; FloatMode: 240
; IeeeMode: 1
; LDSByteSize: 0 bytes/workgroup (compile time only)
; SGPRBlocks: 0
; VGPRBlocks: 1
; NumSGPRsForWavesPerEU: 31
; NumVGPRsForWavesPerEU: 28
; NamedBarCnt: 0
; Occupancy: 16
; WaveLimiterHint : 1
; COMPUTE_PGM_RSRC2:SCRATCH_EN: 0
; COMPUTE_PGM_RSRC2:USER_SGPR: 2
; COMPUTE_PGM_RSRC2:TRAP_HANDLER: 0
; COMPUTE_PGM_RSRC2:TGID_X_EN: 1
; COMPUTE_PGM_RSRC2:TGID_Y_EN: 1
; COMPUTE_PGM_RSRC2:TGID_Z_EN: 1
; COMPUTE_PGM_RSRC2:TIDIG_COMP_CNT: 1
	.section	.AMDGPU.gpr_maximums,"",@progbits
	.set amdgpu.max_num_vgpr, 0
	.set amdgpu.max_num_agpr, 0
	.set amdgpu.max_num_sgpr, 0
	.section	.AMDGPU.csdata,"",@progbits
	.type	__hip_cuid_9744fad726526624,@object ; @__hip_cuid_9744fad726526624
	.section	.bss,"aw",@nobits
	.globl	__hip_cuid_9744fad726526624
__hip_cuid_9744fad726526624:
	.byte	0                               ; 0x0
	.size	__hip_cuid_9744fad726526624, 1

	.ident	"AMD clang version 22.0.0git (https://github.com/RadeonOpenCompute/llvm-project roc-7.2.4 26084 f58b06dce1f9c15707c5f808fd002e18c2accf7e)"
	.section	".note.GNU-stack","",@progbits
	.addrsig
	.addrsig_sym __hip_cuid_9744fad726526624
	.amdgpu_metadata
---
amdhsa.kernels:
  - .args:
      - .offset:         0
        .size:           1
        .value_kind:     by_value
      - .offset:         4
        .size:           4
        .value_kind:     by_value
      - .address_space:  global
        .offset:         8
        .size:           8
        .value_kind:     global_buffer
      - .address_space:  global
        .offset:         16
        .size:           8
        .value_kind:     global_buffer
      - .offset:         24
        .size:           8
        .value_kind:     by_value
      - .offset:         32
        .size:           8
        .value_kind:     by_value
      - .offset:         40
        .size:           8
        .value_kind:     by_value
      - .address_space:  global
        .offset:         48
        .size:           8
        .value_kind:     global_buffer
      - .offset:         56
        .size:           8
        .value_kind:     by_value
      - .offset:         64
        .size:           8
        .value_kind:     by_value
      - .offset:         72
        .size:           4
        .value_kind:     by_value
    .group_segment_fixed_size: 0
    .kernarg_segment_align: 8
    .kernarg_segment_size: 76
    .language:       OpenCL C
    .language_version:
      - 2
      - 0
    .max_flat_workgroup_size: 1024
    .name:           _ZL18rocblas_hpr_kernelILi64ELi16ELi2EPKfPK19rocblas_complex_numIfEPS3_EvbiT2_T3_lllT4_lli
    .private_segment_fixed_size: 0
    .sgpr_count:     32
    .sgpr_spill_count: 0
    .symbol:         _ZL18rocblas_hpr_kernelILi64ELi16ELi2EPKfPK19rocblas_complex_numIfEPS3_EvbiT2_T3_lllT4_lli.kd
    .uniform_work_group_size: 1
    .uses_dynamic_stack: false
    .vgpr_count:     24
    .vgpr_spill_count: 0
    .wavefront_size: 32
  - .args:
      - .offset:         0
        .size:           1
        .value_kind:     by_value
      - .offset:         4
        .size:           4
        .value_kind:     by_value
      - .offset:         8
        .size:           4
        .value_kind:     by_value
      - .address_space:  global
        .offset:         16
        .size:           8
        .value_kind:     global_buffer
      - .offset:         24
        .size:           8
        .value_kind:     by_value
      - .offset:         32
        .size:           8
        .value_kind:     by_value
      - .offset:         40
        .size:           8
        .value_kind:     by_value
      - .address_space:  global
        .offset:         48
        .size:           8
        .value_kind:     global_buffer
      - .offset:         56
        .size:           8
        .value_kind:     by_value
      - .offset:         64
        .size:           8
        .value_kind:     by_value
      - .offset:         72
        .size:           4
        .value_kind:     by_value
    .group_segment_fixed_size: 0
    .kernarg_segment_align: 8
    .kernarg_segment_size: 76
    .language:       OpenCL C
    .language_version:
      - 2
      - 0
    .max_flat_workgroup_size: 1024
    .name:           _ZL18rocblas_hpr_kernelILi64ELi16ELi2EfPK19rocblas_complex_numIfEPS1_EvbiT2_T3_lllT4_lli
    .private_segment_fixed_size: 0
    .sgpr_count:     32
    .sgpr_spill_count: 0
    .symbol:         _ZL18rocblas_hpr_kernelILi64ELi16ELi2EfPK19rocblas_complex_numIfEPS1_EvbiT2_T3_lllT4_lli.kd
    .uniform_work_group_size: 1
    .uses_dynamic_stack: false
    .vgpr_count:     24
    .vgpr_spill_count: 0
    .wavefront_size: 32
  - .args:
      - .offset:         0
        .size:           1
        .value_kind:     by_value
      - .offset:         4
        .size:           4
        .value_kind:     by_value
      - .address_space:  global
        .offset:         8
        .size:           8
        .value_kind:     global_buffer
      - .address_space:  global
        .offset:         16
        .size:           8
        .value_kind:     global_buffer
      - .offset:         24
        .size:           8
        .value_kind:     by_value
      - .offset:         32
        .size:           8
        .value_kind:     by_value
      - .offset:         40
        .size:           8
        .value_kind:     by_value
      - .address_space:  global
        .offset:         48
        .size:           8
        .value_kind:     global_buffer
      - .offset:         56
        .size:           8
        .value_kind:     by_value
      - .offset:         64
        .size:           8
        .value_kind:     by_value
      - .offset:         72
        .size:           4
        .value_kind:     by_value
    .group_segment_fixed_size: 0
    .kernarg_segment_align: 8
    .kernarg_segment_size: 76
    .language:       OpenCL C
    .language_version:
      - 2
      - 0
    .max_flat_workgroup_size: 1024
    .name:           _ZL18rocblas_hpr_kernelILi64ELi16ELi2EPKdPK19rocblas_complex_numIdEPS3_EvbiT2_T3_lllT4_lli
    .private_segment_fixed_size: 0
    .sgpr_count:     32
    .sgpr_spill_count: 0
    .symbol:         _ZL18rocblas_hpr_kernelILi64ELi16ELi2EPKdPK19rocblas_complex_numIdEPS3_EvbiT2_T3_lllT4_lli.kd
    .uniform_work_group_size: 1
    .uses_dynamic_stack: false
    .vgpr_count:     28
    .vgpr_spill_count: 0
    .wavefront_size: 32
  - .args:
      - .offset:         0
        .size:           1
        .value_kind:     by_value
      - .offset:         4
        .size:           4
        .value_kind:     by_value
      - .offset:         8
        .size:           8
        .value_kind:     by_value
      - .address_space:  global
        .offset:         16
        .size:           8
        .value_kind:     global_buffer
      - .offset:         24
        .size:           8
        .value_kind:     by_value
      - .offset:         32
        .size:           8
        .value_kind:     by_value
      - .offset:         40
        .size:           8
        .value_kind:     by_value
      - .address_space:  global
        .offset:         48
        .size:           8
        .value_kind:     global_buffer
      - .offset:         56
        .size:           8
        .value_kind:     by_value
      - .offset:         64
        .size:           8
        .value_kind:     by_value
      - .offset:         72
        .size:           4
        .value_kind:     by_value
    .group_segment_fixed_size: 0
    .kernarg_segment_align: 8
    .kernarg_segment_size: 76
    .language:       OpenCL C
    .language_version:
      - 2
      - 0
    .max_flat_workgroup_size: 1024
    .name:           _ZL18rocblas_hpr_kernelILi64ELi16ELi2EdPK19rocblas_complex_numIdEPS1_EvbiT2_T3_lllT4_lli
    .private_segment_fixed_size: 0
    .sgpr_count:     32
    .sgpr_spill_count: 0
    .symbol:         _ZL18rocblas_hpr_kernelILi64ELi16ELi2EdPK19rocblas_complex_numIdEPS1_EvbiT2_T3_lllT4_lli.kd
    .uniform_work_group_size: 1
    .uses_dynamic_stack: false
    .vgpr_count:     28
    .vgpr_spill_count: 0
    .wavefront_size: 32
  - .args:
      - .offset:         0
        .size:           1
        .value_kind:     by_value
      - .offset:         4
        .size:           4
        .value_kind:     by_value
      - .address_space:  global
        .offset:         8
        .size:           8
        .value_kind:     global_buffer
      - .address_space:  global
        .offset:         16
        .size:           8
        .value_kind:     global_buffer
      - .offset:         24
        .size:           8
        .value_kind:     by_value
      - .offset:         32
        .size:           8
        .value_kind:     by_value
      - .offset:         40
        .size:           8
        .value_kind:     by_value
      - .address_space:  global
        .offset:         48
        .size:           8
        .value_kind:     global_buffer
      - .offset:         56
        .size:           8
        .value_kind:     by_value
      - .offset:         64
        .size:           8
        .value_kind:     by_value
      - .offset:         72
        .size:           4
        .value_kind:     by_value
    .group_segment_fixed_size: 0
    .kernarg_segment_align: 8
    .kernarg_segment_size: 76
    .language:       OpenCL C
    .language_version:
      - 2
      - 0
    .max_flat_workgroup_size: 1024
    .name:           _ZL18rocblas_hpr_kernelILi64ELi16ELi2EPKfPKPK19rocblas_complex_numIfEPKPS3_EvbiT2_T3_lllT4_lli
    .private_segment_fixed_size: 0
    .sgpr_count:     26
    .sgpr_spill_count: 0
    .symbol:         _ZL18rocblas_hpr_kernelILi64ELi16ELi2EPKfPKPK19rocblas_complex_numIfEPKPS3_EvbiT2_T3_lllT4_lli.kd
    .uniform_work_group_size: 1
    .uses_dynamic_stack: false
    .vgpr_count:     28
    .vgpr_spill_count: 0
    .wavefront_size: 32
  - .args:
      - .offset:         0
        .size:           1
        .value_kind:     by_value
      - .offset:         4
        .size:           4
        .value_kind:     by_value
      - .offset:         8
        .size:           4
        .value_kind:     by_value
      - .address_space:  global
        .offset:         16
        .size:           8
        .value_kind:     global_buffer
      - .offset:         24
        .size:           8
        .value_kind:     by_value
      - .offset:         32
        .size:           8
        .value_kind:     by_value
      - .offset:         40
        .size:           8
        .value_kind:     by_value
      - .address_space:  global
        .offset:         48
        .size:           8
        .value_kind:     global_buffer
      - .offset:         56
        .size:           8
        .value_kind:     by_value
      - .offset:         64
        .size:           8
        .value_kind:     by_value
      - .offset:         72
        .size:           4
        .value_kind:     by_value
    .group_segment_fixed_size: 0
    .kernarg_segment_align: 8
    .kernarg_segment_size: 76
    .language:       OpenCL C
    .language_version:
      - 2
      - 0
    .max_flat_workgroup_size: 1024
    .name:           _ZL18rocblas_hpr_kernelILi64ELi16ELi2EfPKPK19rocblas_complex_numIfEPKPS1_EvbiT2_T3_lllT4_lli
    .private_segment_fixed_size: 0
    .sgpr_count:     26
    .sgpr_spill_count: 0
    .symbol:         _ZL18rocblas_hpr_kernelILi64ELi16ELi2EfPKPK19rocblas_complex_numIfEPKPS1_EvbiT2_T3_lllT4_lli.kd
    .uniform_work_group_size: 1
    .uses_dynamic_stack: false
    .vgpr_count:     28
    .vgpr_spill_count: 0
    .wavefront_size: 32
  - .args:
      - .offset:         0
        .size:           1
        .value_kind:     by_value
      - .offset:         4
        .size:           4
        .value_kind:     by_value
      - .address_space:  global
        .offset:         8
        .size:           8
        .value_kind:     global_buffer
      - .address_space:  global
        .offset:         16
        .size:           8
        .value_kind:     global_buffer
      - .offset:         24
        .size:           8
        .value_kind:     by_value
      - .offset:         32
        .size:           8
        .value_kind:     by_value
      - .offset:         40
        .size:           8
        .value_kind:     by_value
      - .address_space:  global
        .offset:         48
        .size:           8
        .value_kind:     global_buffer
      - .offset:         56
        .size:           8
        .value_kind:     by_value
      - .offset:         64
        .size:           8
        .value_kind:     by_value
      - .offset:         72
        .size:           4
        .value_kind:     by_value
    .group_segment_fixed_size: 0
    .kernarg_segment_align: 8
    .kernarg_segment_size: 76
    .language:       OpenCL C
    .language_version:
      - 2
      - 0
    .max_flat_workgroup_size: 1024
    .name:           _ZL18rocblas_hpr_kernelILi64ELi16ELi2EPKdPKPK19rocblas_complex_numIdEPKPS3_EvbiT2_T3_lllT4_lli
    .private_segment_fixed_size: 0
    .sgpr_count:     31
    .sgpr_spill_count: 0
    .symbol:         _ZL18rocblas_hpr_kernelILi64ELi16ELi2EPKdPKPK19rocblas_complex_numIdEPKPS3_EvbiT2_T3_lllT4_lli.kd
    .uniform_work_group_size: 1
    .uses_dynamic_stack: false
    .vgpr_count:     28
    .vgpr_spill_count: 0
    .wavefront_size: 32
  - .args:
      - .offset:         0
        .size:           1
        .value_kind:     by_value
      - .offset:         4
        .size:           4
        .value_kind:     by_value
      - .offset:         8
        .size:           8
        .value_kind:     by_value
      - .address_space:  global
        .offset:         16
        .size:           8
        .value_kind:     global_buffer
      - .offset:         24
        .size:           8
        .value_kind:     by_value
      - .offset:         32
        .size:           8
        .value_kind:     by_value
      - .offset:         40
        .size:           8
        .value_kind:     by_value
      - .address_space:  global
        .offset:         48
        .size:           8
        .value_kind:     global_buffer
      - .offset:         56
        .size:           8
        .value_kind:     by_value
      - .offset:         64
        .size:           8
        .value_kind:     by_value
      - .offset:         72
        .size:           4
        .value_kind:     by_value
    .group_segment_fixed_size: 0
    .kernarg_segment_align: 8
    .kernarg_segment_size: 76
    .language:       OpenCL C
    .language_version:
      - 2
      - 0
    .max_flat_workgroup_size: 1024
    .name:           _ZL18rocblas_hpr_kernelILi64ELi16ELi2EdPKPK19rocblas_complex_numIdEPKPS1_EvbiT2_T3_lllT4_lli
    .private_segment_fixed_size: 0
    .sgpr_count:     31
    .sgpr_spill_count: 0
    .symbol:         _ZL18rocblas_hpr_kernelILi64ELi16ELi2EdPKPK19rocblas_complex_numIdEPKPS1_EvbiT2_T3_lllT4_lli.kd
    .uniform_work_group_size: 1
    .uses_dynamic_stack: false
    .vgpr_count:     28
    .vgpr_spill_count: 0
    .wavefront_size: 32
amdhsa.target:   amdgcn-amd-amdhsa--gfx1250
amdhsa.version:
  - 1
  - 2
...

	.end_amdgpu_metadata
